;; amdgpu-corpus repo=UoB-HPC/miniBUDE kind=compiled arch=gfx1100 opt=O3
	.text
	.amdgcn_target "amdgcn-amd-amdhsa--gfx1100"
	.amdhsa_code_object_version 6
	.section	.text._ZL11fasten_mainILm1EEviiPK4AtomS2_PKfS4_S4_S4_S4_S4_PfPK8FFParamsi,"axG",@progbits,_ZL11fasten_mainILm1EEviiPK4AtomS2_PKfS4_S4_S4_S4_S4_PfPK8FFParamsi,comdat
	.globl	_ZL11fasten_mainILm1EEviiPK4AtomS2_PKfS4_S4_S4_S4_S4_PfPK8FFParamsi ; -- Begin function _ZL11fasten_mainILm1EEviiPK4AtomS2_PKfS4_S4_S4_S4_S4_PfPK8FFParamsi
	.p2align	8
	.type	_ZL11fasten_mainILm1EEviiPK4AtomS2_PKfS4_S4_S4_S4_S4_PfPK8FFParamsi,@function
_ZL11fasten_mainILm1EEviiPK4AtomS2_PKfS4_S4_S4_S4_S4_PfPK8FFParamsi: ; @_ZL11fasten_mainILm1EEviiPK4AtomS2_PKfS4_S4_S4_S4_S4_PfPK8FFParamsi
; %bb.0:
	s_clause 0x1
	s_load_b32 s2, s[0:1], 0x6c
	s_load_b32 s3, s[0:1], 0x58
                                        ; implicit-def: $vgpr6
	s_waitcnt lgkmcnt(0)
	s_and_b32 s2, s2, 0xffff
	s_add_i32 s4, s3, -1
	v_mad_u64_u32 v[4:5], null, s15, s2, v[0:1]
	s_load_b512 s[12:27], s[0:1], 0x8
                                        ; implicit-def: $vgpr5
	s_delay_alu instid0(VALU_DEP_1) | instskip(NEXT) | instid1(VALU_DEP_1)
	v_cmp_gt_i32_e64 s2, s3, v4
	v_cndmask_b32_e64 v0, s4, v4, s2
	s_delay_alu instid0(VALU_DEP_1) | instskip(NEXT) | instid1(VALU_DEP_1)
	v_ashrrev_i32_e32 v1, 31, v0
	v_lshlrev_b64 v[0:1], 2, v[0:1]
	s_waitcnt lgkmcnt(0)
	s_delay_alu instid0(VALU_DEP_1) | instskip(NEXT) | instid1(VALU_DEP_2)
	v_add_co_u32 v2, vcc_lo, s16, v0
	v_add_co_ci_u32_e32 v3, vcc_lo, s17, v1, vcc_lo
	global_load_b32 v2, v[2:3], off
	s_waitcnt vmcnt(0)
	v_and_b32_e32 v3, 0x7fffffff, v2
	v_cmp_ngt_f32_e64 s6, 0x48000000, |v2|
	s_delay_alu instid0(VALU_DEP_2) | instskip(NEXT) | instid1(VALU_DEP_2)
	v_lshrrev_b32_e32 v9, 23, v3
	s_and_saveexec_b32 s3, s6
	s_delay_alu instid0(SALU_CYCLE_1)
	s_xor_b32 s7, exec_lo, s3
	s_cbranch_execz .LBB0_2
; %bb.1:
	s_mov_b32 s3, 0x7fffff
	v_mov_b32_e32 v7, 0
	v_and_or_b32 v8, v3, s3, 0x800000
	v_add_nc_u32_e32 v15, 0xffffff88, v9
	s_delay_alu instid0(VALU_DEP_2) | instskip(NEXT) | instid1(VALU_DEP_2)
	v_mad_u64_u32 v[5:6], null, 0xfe5163ab, v8, 0
	v_cmp_lt_u32_e32 vcc_lo, 63, v15
	v_cndmask_b32_e64 v16, 0, 0xffffffc0, vcc_lo
	s_delay_alu instid0(VALU_DEP_3) | instskip(NEXT) | instid1(VALU_DEP_1)
	v_mad_u64_u32 v[10:11], null, 0x3c439041, v8, v[6:7]
	v_mov_b32_e32 v6, v11
	s_delay_alu instid0(VALU_DEP_1) | instskip(NEXT) | instid1(VALU_DEP_1)
	v_mad_u64_u32 v[11:12], null, 0xdb629599, v8, v[6:7]
	v_dual_cndmask_b32 v5, v11, v5 :: v_dual_add_nc_u32 v16, v16, v15
	s_delay_alu instid0(VALU_DEP_2) | instskip(NEXT) | instid1(VALU_DEP_2)
	v_mov_b32_e32 v6, v12
	v_cmp_lt_u32_e64 s3, 31, v16
	s_delay_alu instid0(VALU_DEP_2) | instskip(NEXT) | instid1(VALU_DEP_2)
	v_mad_u64_u32 v[12:13], null, 0xf534ddc0, v8, v[6:7]
	v_cndmask_b32_e64 v17, 0, 0xffffffe0, s3
	s_delay_alu instid0(VALU_DEP_1) | instskip(NEXT) | instid1(VALU_DEP_3)
	v_add_nc_u32_e32 v17, v17, v16
	v_mov_b32_e32 v6, v13
	s_delay_alu instid0(VALU_DEP_4) | instskip(NEXT) | instid1(VALU_DEP_3)
	v_cndmask_b32_e32 v10, v12, v10, vcc_lo
	v_cmp_lt_u32_e64 s4, 31, v17
	s_delay_alu instid0(VALU_DEP_3) | instskip(NEXT) | instid1(VALU_DEP_3)
	v_mad_u64_u32 v[13:14], null, 0xfc2757d1, v8, v[6:7]
	v_cndmask_b32_e64 v5, v10, v5, s3
	s_delay_alu instid0(VALU_DEP_2) | instskip(NEXT) | instid1(VALU_DEP_1)
	v_mov_b32_e32 v6, v14
	v_mad_u64_u32 v[14:15], null, 0x4e441529, v8, v[6:7]
	s_delay_alu instid0(VALU_DEP_1) | instskip(NEXT) | instid1(VALU_DEP_1)
	v_mov_b32_e32 v6, v15
	v_mad_u64_u32 v[15:16], null, 0xa2f9836e, v8, v[6:7]
	v_cndmask_b32_e64 v6, 0, 0xffffffe0, s4
	s_delay_alu instid0(VALU_DEP_4) | instskip(NEXT) | instid1(VALU_DEP_2)
	v_cndmask_b32_e32 v7, v14, v12, vcc_lo
	v_add_nc_u32_e32 v6, v6, v17
	s_delay_alu instid0(VALU_DEP_4) | instskip(SKIP_1) | instid1(VALU_DEP_3)
	v_cndmask_b32_e32 v8, v15, v13, vcc_lo
	v_dual_cndmask_b32 v14, v16, v14 :: v_dual_cndmask_b32 v13, v13, v11
	v_cmp_eq_u32_e64 s5, 0, v6
	s_delay_alu instid0(VALU_DEP_3) | instskip(NEXT) | instid1(VALU_DEP_3)
	v_cndmask_b32_e64 v12, v8, v7, s3
	v_cndmask_b32_e64 v8, v14, v8, s3
	s_delay_alu instid0(VALU_DEP_4) | instskip(SKIP_2) | instid1(VALU_DEP_4)
	v_cndmask_b32_e64 v7, v7, v13, s3
	v_sub_nc_u32_e32 v14, 32, v6
	v_cndmask_b32_e64 v13, v13, v10, s3
	v_cndmask_b32_e64 v8, v8, v12, s4
	s_delay_alu instid0(VALU_DEP_4) | instskip(NEXT) | instid1(VALU_DEP_3)
	v_cndmask_b32_e64 v12, v12, v7, s4
	v_cndmask_b32_e64 v7, v7, v13, s4
	;; [unrolled: 1-line block ×3, first 2 shown]
	s_delay_alu instid0(VALU_DEP_3) | instskip(NEXT) | instid1(VALU_DEP_3)
	v_alignbit_b32 v15, v8, v12, v14
	v_alignbit_b32 v16, v12, v7, v14
	s_delay_alu instid0(VALU_DEP_3) | instskip(NEXT) | instid1(VALU_DEP_3)
	v_alignbit_b32 v14, v7, v5, v14
	v_cndmask_b32_e64 v6, v15, v8, s5
	s_delay_alu instid0(VALU_DEP_3) | instskip(NEXT) | instid1(VALU_DEP_3)
	v_cndmask_b32_e64 v8, v16, v12, s5
	v_cndmask_b32_e64 v7, v14, v7, s5
	s_delay_alu instid0(VALU_DEP_3) | instskip(NEXT) | instid1(VALU_DEP_3)
	v_bfe_u32 v11, v6, 29, 1
	v_alignbit_b32 v10, v6, v8, 30
	s_delay_alu instid0(VALU_DEP_3) | instskip(SKIP_1) | instid1(VALU_DEP_4)
	v_alignbit_b32 v8, v8, v7, 30
	v_alignbit_b32 v5, v7, v5, 30
	v_sub_nc_u32_e32 v12, 0, v11
	s_delay_alu instid0(VALU_DEP_1) | instskip(SKIP_3) | instid1(VALU_DEP_4)
	v_xor_b32_e32 v13, v10, v12
	v_cmp_ne_u32_e32 vcc_lo, v10, v12
	v_xor_b32_e32 v7, v8, v12
	v_xor_b32_e32 v5, v5, v12
	v_clz_i32_u32_e32 v15, v13
	s_delay_alu instid0(VALU_DEP_1) | instskip(NEXT) | instid1(VALU_DEP_1)
	v_add_nc_u32_e32 v14, 1, v15
	v_cndmask_b32_e32 v10, 33, v14, vcc_lo
	s_delay_alu instid0(VALU_DEP_1) | instskip(NEXT) | instid1(VALU_DEP_1)
	v_sub_nc_u32_e32 v8, 32, v10
	v_alignbit_b32 v12, v13, v7, v8
	v_alignbit_b32 v5, v7, v5, v8
	v_lshrrev_b32_e32 v7, 29, v6
	v_lshrrev_b32_e32 v6, 30, v6
	s_delay_alu instid0(VALU_DEP_3) | instskip(NEXT) | instid1(VALU_DEP_3)
	v_alignbit_b32 v8, v12, v5, 9
	v_lshlrev_b32_e32 v7, 31, v7
	v_alignbit_b32 v12, v10, v12, 9
	s_delay_alu instid0(VALU_DEP_4) | instskip(NEXT) | instid1(VALU_DEP_4)
	v_add_nc_u32_e32 v6, v11, v6
	v_clz_i32_u32_e32 v13, v8
	s_delay_alu instid0(VALU_DEP_3) | instskip(SKIP_1) | instid1(VALU_DEP_3)
	v_or_b32_e32 v12, v12, v7
	v_or_b32_e32 v7, 0x33800000, v7
	v_min_u32_e32 v13, 32, v13
	s_delay_alu instid0(VALU_DEP_3) | instskip(NEXT) | instid1(VALU_DEP_2)
	v_xor_b32_e32 v12, 1.0, v12
	v_sub_nc_u32_e32 v14, 31, v13
	v_add_lshl_u32 v10, v13, v10, 23
	s_delay_alu instid0(VALU_DEP_3) | instskip(NEXT) | instid1(VALU_DEP_3)
	v_mul_f32_e32 v13, 0x3fc90fda, v12
	v_alignbit_b32 v5, v8, v5, v14
	s_delay_alu instid0(VALU_DEP_3) | instskip(NEXT) | instid1(VALU_DEP_3)
	v_sub_nc_u32_e32 v7, v7, v10
	v_fma_f32 v8, 0x3fc90fda, v12, -v13
	s_delay_alu instid0(VALU_DEP_3) | instskip(NEXT) | instid1(VALU_DEP_2)
	v_lshrrev_b32_e32 v5, 9, v5
	v_fmamk_f32 v8, v12, 0x33a22168, v8
	s_delay_alu instid0(VALU_DEP_2) | instskip(NEXT) | instid1(VALU_DEP_1)
	v_or_b32_e32 v5, v7, v5
	v_fmac_f32_e32 v8, 0x3fc90fda, v5
	s_delay_alu instid0(VALU_DEP_1)
	v_add_f32_e32 v5, v13, v8
	s_or_saveexec_b32 s3, s7
	v_mul_f32_e64 v10, 0x3f22f983, |v2|
	s_xor_b32 exec_lo, exec_lo, s3
	s_branch .LBB0_3
.LBB0_2:
	s_or_saveexec_b32 s3, s7
	v_mul_f32_e64 v10, 0x3f22f983, |v2|
	s_xor_b32 exec_lo, exec_lo, s3
.LBB0_3:
	s_delay_alu instid0(VALU_DEP_1) | instskip(NEXT) | instid1(VALU_DEP_1)
	v_rndne_f32_e32 v6, v10
	v_fma_f32 v5, 0xbfc90fda, v6, |v2|
	s_delay_alu instid0(VALU_DEP_1) | instskip(NEXT) | instid1(VALU_DEP_1)
	v_fmamk_f32 v5, v6, 0xb3a22168, v5
	v_fmamk_f32 v5, v6, 0xa7c234c4, v5
	v_cvt_i32_f32_e32 v6, v6
; %bb.4:
	s_or_b32 exec_lo, exec_lo, s3
                                        ; implicit-def: $vgpr7
                                        ; implicit-def: $vgpr8
	s_and_saveexec_b32 s3, s6
	s_delay_alu instid0(SALU_CYCLE_1)
	s_xor_b32 s6, exec_lo, s3
	s_cbranch_execz .LBB0_6
; %bb.5:
	s_mov_b32 s3, 0x7fffff
	s_delay_alu instid0(SALU_CYCLE_1) | instskip(NEXT) | instid1(VALU_DEP_1)
	v_and_or_b32 v18, v3, s3, 0x800000
	v_mad_u64_u32 v[7:8], null, 0xfe5163ab, v18, 0
	s_delay_alu instid0(VALU_DEP_1) | instskip(NEXT) | instid1(VALU_DEP_1)
	v_dual_mov_b32 v11, 0 :: v_dual_mov_b32 v10, v8
	v_mad_u64_u32 v[12:13], null, 0x3c439041, v18, v[10:11]
	s_delay_alu instid0(VALU_DEP_1) | instskip(NEXT) | instid1(VALU_DEP_1)
	v_mov_b32_e32 v10, v13
	v_mad_u64_u32 v[13:14], null, 0xdb629599, v18, v[10:11]
	s_delay_alu instid0(VALU_DEP_1) | instskip(NEXT) | instid1(VALU_DEP_1)
	v_mov_b32_e32 v10, v14
	v_mad_u64_u32 v[14:15], null, 0xf534ddc0, v18, v[10:11]
	s_delay_alu instid0(VALU_DEP_1) | instskip(NEXT) | instid1(VALU_DEP_1)
	v_dual_mov_b32 v10, v15 :: v_dual_add_nc_u32 v15, 0xffffff88, v9
	v_mad_u64_u32 v[8:9], null, 0xfc2757d1, v18, v[10:11]
	s_delay_alu instid0(VALU_DEP_2) | instskip(SKIP_1) | instid1(VALU_DEP_3)
	v_cmp_lt_u32_e32 vcc_lo, 63, v15
	v_cndmask_b32_e64 v16, 0, 0xffffffc0, vcc_lo
	v_mov_b32_e32 v10, v9
	v_cndmask_b32_e32 v7, v13, v7, vcc_lo
	s_delay_alu instid0(VALU_DEP_3) | instskip(NEXT) | instid1(VALU_DEP_3)
	v_add_nc_u32_e32 v9, v16, v15
	v_mad_u64_u32 v[15:16], null, 0x4e441529, v18, v[10:11]
	s_delay_alu instid0(VALU_DEP_2) | instskip(NEXT) | instid1(VALU_DEP_2)
	v_cmp_lt_u32_e64 s3, 31, v9
	v_mov_b32_e32 v10, v16
	s_delay_alu instid0(VALU_DEP_2) | instskip(NEXT) | instid1(VALU_DEP_1)
	v_cndmask_b32_e64 v17, 0, 0xffffffe0, s3
	v_add_nc_u32_e32 v9, v17, v9
	s_delay_alu instid0(VALU_DEP_3) | instskip(SKIP_1) | instid1(VALU_DEP_3)
	v_mad_u64_u32 v[16:17], null, 0xa2f9836e, v18, v[10:11]
	v_cndmask_b32_e32 v11, v15, v14, vcc_lo
	v_cmp_lt_u32_e64 s4, 31, v9
	s_delay_alu instid0(VALU_DEP_3) | instskip(NEXT) | instid1(VALU_DEP_2)
	v_cndmask_b32_e32 v15, v17, v15, vcc_lo
	v_cndmask_b32_e64 v10, 0, 0xffffffe0, s4
	v_cndmask_b32_e32 v16, v16, v8, vcc_lo
	v_cndmask_b32_e32 v8, v8, v13, vcc_lo
	s_delay_alu instid0(VALU_DEP_3) | instskip(SKIP_1) | instid1(VALU_DEP_4)
	v_add_nc_u32_e32 v9, v10, v9
	v_cndmask_b32_e32 v10, v14, v12, vcc_lo
	v_cndmask_b32_e64 v12, v16, v11, s3
	v_cndmask_b32_e64 v14, v15, v16, s3
	;; [unrolled: 1-line block ×3, first 2 shown]
	v_sub_nc_u32_e32 v15, 32, v9
	v_cndmask_b32_e64 v8, v8, v10, s3
	v_cmp_eq_u32_e64 s5, 0, v9
	v_cndmask_b32_e64 v14, v14, v12, s4
	v_cndmask_b32_e64 v12, v12, v11, s4
	;; [unrolled: 1-line block ×4, first 2 shown]
	s_delay_alu instid0(VALU_DEP_3) | instskip(NEXT) | instid1(VALU_DEP_3)
	v_alignbit_b32 v16, v14, v12, v15
	v_cndmask_b32_e64 v7, v8, v7, s4
	s_delay_alu instid0(VALU_DEP_3) | instskip(NEXT) | instid1(VALU_DEP_3)
	v_alignbit_b32 v17, v12, v11, v15
	v_cndmask_b32_e64 v9, v16, v14, s5
	;; [unrolled: 3-line block ×3, first 2 shown]
	s_delay_alu instid0(VALU_DEP_3) | instskip(NEXT) | instid1(VALU_DEP_3)
	v_bfe_u32 v13, v9, 29, 1
	v_cndmask_b32_e64 v11, v15, v11, s5
	s_delay_alu instid0(VALU_DEP_3) | instskip(NEXT) | instid1(VALU_DEP_3)
	v_alignbit_b32 v10, v9, v12, 30
	v_sub_nc_u32_e32 v14, 0, v13
	s_delay_alu instid0(VALU_DEP_3) | instskip(SKIP_1) | instid1(VALU_DEP_3)
	v_alignbit_b32 v12, v12, v11, 30
	v_alignbit_b32 v7, v11, v7, 30
	v_xor_b32_e32 v8, v10, v14
	v_cmp_ne_u32_e32 vcc_lo, v10, v14
	s_delay_alu instid0(VALU_DEP_4) | instskip(NEXT) | instid1(VALU_DEP_4)
	v_xor_b32_e32 v11, v12, v14
	v_xor_b32_e32 v7, v7, v14
	s_delay_alu instid0(VALU_DEP_4) | instskip(NEXT) | instid1(VALU_DEP_1)
	v_clz_i32_u32_e32 v16, v8
	v_add_nc_u32_e32 v15, 1, v16
	s_delay_alu instid0(VALU_DEP_1) | instskip(NEXT) | instid1(VALU_DEP_1)
	v_cndmask_b32_e32 v10, 33, v15, vcc_lo
	v_sub_nc_u32_e32 v12, 32, v10
	s_delay_alu instid0(VALU_DEP_1) | instskip(SKIP_2) | instid1(VALU_DEP_2)
	v_alignbit_b32 v8, v8, v11, v12
	v_alignbit_b32 v7, v11, v7, v12
	v_lshrrev_b32_e32 v11, 29, v9
	v_alignbit_b32 v12, v8, v7, 9
	s_delay_alu instid0(VALU_DEP_2) | instskip(SKIP_1) | instid1(VALU_DEP_3)
	v_lshlrev_b32_e32 v11, 31, v11
	v_alignbit_b32 v8, v10, v8, 9
	v_clz_i32_u32_e32 v14, v12
	s_delay_alu instid0(VALU_DEP_2) | instskip(SKIP_1) | instid1(VALU_DEP_3)
	v_or_b32_e32 v8, v8, v11
	v_or_b32_e32 v11, 0x33800000, v11
	v_min_u32_e32 v14, 32, v14
	s_delay_alu instid0(VALU_DEP_3) | instskip(NEXT) | instid1(VALU_DEP_2)
	v_xor_b32_e32 v8, 1.0, v8
	v_sub_nc_u32_e32 v15, 31, v14
	v_add_lshl_u32 v10, v14, v10, 23
	s_delay_alu instid0(VALU_DEP_3) | instskip(NEXT) | instid1(VALU_DEP_3)
	v_mul_f32_e32 v14, 0x3fc90fda, v8
	v_alignbit_b32 v7, v12, v7, v15
	s_delay_alu instid0(VALU_DEP_3) | instskip(NEXT) | instid1(VALU_DEP_3)
	v_sub_nc_u32_e32 v10, v11, v10
	v_fma_f32 v11, 0x3fc90fda, v8, -v14
	s_delay_alu instid0(VALU_DEP_3) | instskip(NEXT) | instid1(VALU_DEP_2)
	v_lshrrev_b32_e32 v7, 9, v7
	v_fmamk_f32 v8, v8, 0x33a22168, v11
	s_delay_alu instid0(VALU_DEP_2) | instskip(NEXT) | instid1(VALU_DEP_1)
	v_or_b32_e32 v7, v10, v7
                                        ; implicit-def: $vgpr10
	v_fmac_f32_e32 v8, 0x3fc90fda, v7
	v_lshrrev_b32_e32 v7, 30, v9
	s_delay_alu instid0(VALU_DEP_1)
	v_dual_add_f32 v8, v14, v8 :: v_dual_add_nc_u32 v7, v13, v7
	s_and_not1_saveexec_b32 s3, s6
	s_cbranch_execnz .LBB0_7
	s_branch .LBB0_8
.LBB0_6:
	s_and_not1_saveexec_b32 s3, s6
.LBB0_7:
	v_rndne_f32_e32 v7, v10
	s_delay_alu instid0(VALU_DEP_1) | instskip(NEXT) | instid1(VALU_DEP_1)
	v_fma_f32 v8, 0xbfc90fda, v7, |v2|
	v_fmamk_f32 v8, v7, 0xb3a22168, v8
	s_delay_alu instid0(VALU_DEP_1)
	v_fmamk_f32 v8, v7, 0xa7c234c4, v8
	v_cvt_i32_f32_e32 v7, v7
.LBB0_8:
	s_or_b32 exec_lo, exec_lo, s3
	v_add_co_u32 v9, vcc_lo, s18, v0
	v_add_co_ci_u32_e32 v10, vcc_lo, s19, v1, vcc_lo
                                        ; implicit-def: $vgpr12
                                        ; implicit-def: $vgpr11
	global_load_b32 v9, v[9:10], off
	s_waitcnt vmcnt(0)
	v_and_b32_e32 v10, 0x7fffffff, v9
	v_cmp_ngt_f32_e64 s6, 0x48000000, |v9|
	s_delay_alu instid0(VALU_DEP_2) | instskip(NEXT) | instid1(VALU_DEP_2)
	v_lshrrev_b32_e32 v15, 23, v10
	s_and_saveexec_b32 s3, s6
	s_delay_alu instid0(SALU_CYCLE_1)
	s_xor_b32 s7, exec_lo, s3
	s_cbranch_execz .LBB0_10
; %bb.9:
	s_mov_b32 s3, 0x7fffff
	v_mov_b32_e32 v13, 0
	v_and_or_b32 v14, v10, s3, 0x800000
	v_add_nc_u32_e32 v21, 0xffffff88, v15
	s_delay_alu instid0(VALU_DEP_2) | instskip(NEXT) | instid1(VALU_DEP_2)
	v_mad_u64_u32 v[11:12], null, 0xfe5163ab, v14, 0
	v_cmp_lt_u32_e32 vcc_lo, 63, v21
	v_cndmask_b32_e64 v22, 0, 0xffffffc0, vcc_lo
	s_delay_alu instid0(VALU_DEP_3) | instskip(NEXT) | instid1(VALU_DEP_1)
	v_mad_u64_u32 v[16:17], null, 0x3c439041, v14, v[12:13]
	v_mov_b32_e32 v12, v17
	s_delay_alu instid0(VALU_DEP_1) | instskip(NEXT) | instid1(VALU_DEP_1)
	v_mad_u64_u32 v[17:18], null, 0xdb629599, v14, v[12:13]
	v_dual_cndmask_b32 v11, v17, v11 :: v_dual_add_nc_u32 v22, v22, v21
	s_delay_alu instid0(VALU_DEP_2) | instskip(NEXT) | instid1(VALU_DEP_2)
	v_mov_b32_e32 v12, v18
	v_cmp_lt_u32_e64 s3, 31, v22
	s_delay_alu instid0(VALU_DEP_2) | instskip(NEXT) | instid1(VALU_DEP_2)
	v_mad_u64_u32 v[18:19], null, 0xf534ddc0, v14, v[12:13]
	v_cndmask_b32_e64 v23, 0, 0xffffffe0, s3
	s_delay_alu instid0(VALU_DEP_1) | instskip(NEXT) | instid1(VALU_DEP_3)
	v_add_nc_u32_e32 v23, v23, v22
	v_mov_b32_e32 v12, v19
	s_delay_alu instid0(VALU_DEP_4) | instskip(NEXT) | instid1(VALU_DEP_3)
	v_cndmask_b32_e32 v16, v18, v16, vcc_lo
	v_cmp_lt_u32_e64 s4, 31, v23
	s_delay_alu instid0(VALU_DEP_3) | instskip(NEXT) | instid1(VALU_DEP_3)
	v_mad_u64_u32 v[19:20], null, 0xfc2757d1, v14, v[12:13]
	v_cndmask_b32_e64 v11, v16, v11, s3
	s_delay_alu instid0(VALU_DEP_2) | instskip(NEXT) | instid1(VALU_DEP_1)
	v_mov_b32_e32 v12, v20
	v_mad_u64_u32 v[20:21], null, 0x4e441529, v14, v[12:13]
	s_delay_alu instid0(VALU_DEP_1) | instskip(NEXT) | instid1(VALU_DEP_1)
	v_mov_b32_e32 v12, v21
	v_mad_u64_u32 v[21:22], null, 0xa2f9836e, v14, v[12:13]
	v_cndmask_b32_e64 v12, 0, 0xffffffe0, s4
	s_delay_alu instid0(VALU_DEP_4) | instskip(NEXT) | instid1(VALU_DEP_2)
	v_cndmask_b32_e32 v13, v20, v18, vcc_lo
	v_add_nc_u32_e32 v12, v12, v23
	s_delay_alu instid0(VALU_DEP_4) | instskip(SKIP_1) | instid1(VALU_DEP_3)
	v_cndmask_b32_e32 v14, v21, v19, vcc_lo
	v_dual_cndmask_b32 v20, v22, v20 :: v_dual_cndmask_b32 v19, v19, v17
	v_cmp_eq_u32_e64 s5, 0, v12
	s_delay_alu instid0(VALU_DEP_3) | instskip(NEXT) | instid1(VALU_DEP_3)
	v_cndmask_b32_e64 v18, v14, v13, s3
	v_cndmask_b32_e64 v14, v20, v14, s3
	s_delay_alu instid0(VALU_DEP_4) | instskip(SKIP_2) | instid1(VALU_DEP_4)
	v_cndmask_b32_e64 v13, v13, v19, s3
	v_sub_nc_u32_e32 v20, 32, v12
	v_cndmask_b32_e64 v19, v19, v16, s3
	v_cndmask_b32_e64 v14, v14, v18, s4
	s_delay_alu instid0(VALU_DEP_4) | instskip(NEXT) | instid1(VALU_DEP_3)
	v_cndmask_b32_e64 v18, v18, v13, s4
	v_cndmask_b32_e64 v13, v13, v19, s4
	;; [unrolled: 1-line block ×3, first 2 shown]
	s_delay_alu instid0(VALU_DEP_3) | instskip(NEXT) | instid1(VALU_DEP_3)
	v_alignbit_b32 v21, v14, v18, v20
	v_alignbit_b32 v22, v18, v13, v20
	s_delay_alu instid0(VALU_DEP_3) | instskip(NEXT) | instid1(VALU_DEP_3)
	v_alignbit_b32 v20, v13, v11, v20
	v_cndmask_b32_e64 v12, v21, v14, s5
	s_delay_alu instid0(VALU_DEP_3) | instskip(NEXT) | instid1(VALU_DEP_3)
	v_cndmask_b32_e64 v14, v22, v18, s5
	v_cndmask_b32_e64 v13, v20, v13, s5
	s_delay_alu instid0(VALU_DEP_3) | instskip(NEXT) | instid1(VALU_DEP_3)
	v_bfe_u32 v17, v12, 29, 1
	v_alignbit_b32 v16, v12, v14, 30
	s_delay_alu instid0(VALU_DEP_3) | instskip(SKIP_1) | instid1(VALU_DEP_4)
	v_alignbit_b32 v14, v14, v13, 30
	v_alignbit_b32 v11, v13, v11, 30
	v_sub_nc_u32_e32 v18, 0, v17
	s_delay_alu instid0(VALU_DEP_1) | instskip(SKIP_3) | instid1(VALU_DEP_4)
	v_xor_b32_e32 v19, v16, v18
	v_cmp_ne_u32_e32 vcc_lo, v16, v18
	v_xor_b32_e32 v13, v14, v18
	v_xor_b32_e32 v11, v11, v18
	v_clz_i32_u32_e32 v21, v19
	s_delay_alu instid0(VALU_DEP_1) | instskip(NEXT) | instid1(VALU_DEP_1)
	v_add_nc_u32_e32 v20, 1, v21
	v_cndmask_b32_e32 v16, 33, v20, vcc_lo
	s_delay_alu instid0(VALU_DEP_1) | instskip(NEXT) | instid1(VALU_DEP_1)
	v_sub_nc_u32_e32 v14, 32, v16
	v_alignbit_b32 v18, v19, v13, v14
	v_alignbit_b32 v11, v13, v11, v14
	v_lshrrev_b32_e32 v13, 29, v12
	v_lshrrev_b32_e32 v12, 30, v12
	s_delay_alu instid0(VALU_DEP_3) | instskip(NEXT) | instid1(VALU_DEP_3)
	v_alignbit_b32 v14, v18, v11, 9
	v_lshlrev_b32_e32 v13, 31, v13
	v_alignbit_b32 v18, v16, v18, 9
	s_delay_alu instid0(VALU_DEP_4) | instskip(NEXT) | instid1(VALU_DEP_4)
	v_add_nc_u32_e32 v12, v17, v12
	v_clz_i32_u32_e32 v19, v14
	s_delay_alu instid0(VALU_DEP_3) | instskip(SKIP_1) | instid1(VALU_DEP_3)
	v_or_b32_e32 v18, v18, v13
	v_or_b32_e32 v13, 0x33800000, v13
	v_min_u32_e32 v19, 32, v19
	s_delay_alu instid0(VALU_DEP_3) | instskip(NEXT) | instid1(VALU_DEP_2)
	v_xor_b32_e32 v18, 1.0, v18
	v_sub_nc_u32_e32 v20, 31, v19
	v_add_lshl_u32 v16, v19, v16, 23
	s_delay_alu instid0(VALU_DEP_3) | instskip(NEXT) | instid1(VALU_DEP_3)
	v_mul_f32_e32 v19, 0x3fc90fda, v18
	v_alignbit_b32 v11, v14, v11, v20
	s_delay_alu instid0(VALU_DEP_3) | instskip(NEXT) | instid1(VALU_DEP_3)
	v_sub_nc_u32_e32 v13, v13, v16
	v_fma_f32 v14, 0x3fc90fda, v18, -v19
	s_delay_alu instid0(VALU_DEP_3) | instskip(NEXT) | instid1(VALU_DEP_2)
	v_lshrrev_b32_e32 v11, 9, v11
	v_fmamk_f32 v14, v18, 0x33a22168, v14
	s_delay_alu instid0(VALU_DEP_2) | instskip(NEXT) | instid1(VALU_DEP_1)
	v_or_b32_e32 v11, v13, v11
	v_fmac_f32_e32 v14, 0x3fc90fda, v11
	s_delay_alu instid0(VALU_DEP_1)
	v_add_f32_e32 v11, v19, v14
	s_or_saveexec_b32 s3, s7
	v_mul_f32_e64 v16, 0x3f22f983, |v9|
	s_xor_b32 exec_lo, exec_lo, s3
	s_branch .LBB0_11
.LBB0_10:
	s_or_saveexec_b32 s3, s7
	v_mul_f32_e64 v16, 0x3f22f983, |v9|
	s_xor_b32 exec_lo, exec_lo, s3
.LBB0_11:
	s_delay_alu instid0(VALU_DEP_1) | instskip(NEXT) | instid1(VALU_DEP_1)
	v_rndne_f32_e32 v12, v16
	v_fma_f32 v11, 0xbfc90fda, v12, |v9|
	s_delay_alu instid0(VALU_DEP_1) | instskip(NEXT) | instid1(VALU_DEP_1)
	v_fmamk_f32 v11, v12, 0xb3a22168, v11
	v_fmamk_f32 v11, v12, 0xa7c234c4, v11
	v_cvt_i32_f32_e32 v12, v12
; %bb.12:
	s_or_b32 exec_lo, exec_lo, s3
                                        ; implicit-def: $vgpr14
                                        ; implicit-def: $vgpr13
	s_and_saveexec_b32 s3, s6
	s_delay_alu instid0(SALU_CYCLE_1)
	s_xor_b32 s6, exec_lo, s3
	s_cbranch_execz .LBB0_14
; %bb.13:
	s_mov_b32 s3, 0x7fffff
	s_delay_alu instid0(SALU_CYCLE_1) | instskip(NEXT) | instid1(VALU_DEP_1)
	v_and_or_b32 v24, v10, s3, 0x800000
	v_mad_u64_u32 v[13:14], null, 0xfe5163ab, v24, 0
	s_delay_alu instid0(VALU_DEP_1) | instskip(NEXT) | instid1(VALU_DEP_1)
	v_dual_mov_b32 v17, 0 :: v_dual_mov_b32 v16, v14
	v_mad_u64_u32 v[18:19], null, 0x3c439041, v24, v[16:17]
	s_delay_alu instid0(VALU_DEP_1) | instskip(NEXT) | instid1(VALU_DEP_1)
	v_mov_b32_e32 v16, v19
	v_mad_u64_u32 v[19:20], null, 0xdb629599, v24, v[16:17]
	s_delay_alu instid0(VALU_DEP_1) | instskip(NEXT) | instid1(VALU_DEP_1)
	v_mov_b32_e32 v16, v20
	v_mad_u64_u32 v[20:21], null, 0xf534ddc0, v24, v[16:17]
	s_delay_alu instid0(VALU_DEP_1) | instskip(NEXT) | instid1(VALU_DEP_1)
	v_dual_mov_b32 v16, v21 :: v_dual_add_nc_u32 v21, 0xffffff88, v15
	v_mad_u64_u32 v[14:15], null, 0xfc2757d1, v24, v[16:17]
	s_delay_alu instid0(VALU_DEP_2) | instskip(SKIP_1) | instid1(VALU_DEP_3)
	v_cmp_lt_u32_e32 vcc_lo, 63, v21
	v_cndmask_b32_e64 v22, 0, 0xffffffc0, vcc_lo
	v_mov_b32_e32 v16, v15
	v_cndmask_b32_e32 v13, v19, v13, vcc_lo
	s_delay_alu instid0(VALU_DEP_3) | instskip(NEXT) | instid1(VALU_DEP_3)
	v_add_nc_u32_e32 v15, v22, v21
	v_mad_u64_u32 v[21:22], null, 0x4e441529, v24, v[16:17]
	s_delay_alu instid0(VALU_DEP_2) | instskip(NEXT) | instid1(VALU_DEP_2)
	v_cmp_lt_u32_e64 s3, 31, v15
	v_mov_b32_e32 v16, v22
	s_delay_alu instid0(VALU_DEP_2) | instskip(NEXT) | instid1(VALU_DEP_1)
	v_cndmask_b32_e64 v23, 0, 0xffffffe0, s3
	v_add_nc_u32_e32 v15, v23, v15
	s_delay_alu instid0(VALU_DEP_3) | instskip(SKIP_1) | instid1(VALU_DEP_3)
	v_mad_u64_u32 v[22:23], null, 0xa2f9836e, v24, v[16:17]
	v_cndmask_b32_e32 v17, v21, v20, vcc_lo
	v_cmp_lt_u32_e64 s4, 31, v15
	s_delay_alu instid0(VALU_DEP_3) | instskip(NEXT) | instid1(VALU_DEP_2)
	v_cndmask_b32_e32 v21, v23, v21, vcc_lo
	v_cndmask_b32_e64 v16, 0, 0xffffffe0, s4
	v_cndmask_b32_e32 v22, v22, v14, vcc_lo
	v_cndmask_b32_e32 v14, v14, v19, vcc_lo
	s_delay_alu instid0(VALU_DEP_3) | instskip(SKIP_1) | instid1(VALU_DEP_4)
	v_add_nc_u32_e32 v15, v16, v15
	v_cndmask_b32_e32 v16, v20, v18, vcc_lo
	v_cndmask_b32_e64 v18, v22, v17, s3
	v_cndmask_b32_e64 v20, v21, v22, s3
	;; [unrolled: 1-line block ×3, first 2 shown]
	v_sub_nc_u32_e32 v21, 32, v15
	v_cndmask_b32_e64 v14, v14, v16, s3
	v_cmp_eq_u32_e64 s5, 0, v15
	v_cndmask_b32_e64 v20, v20, v18, s4
	v_cndmask_b32_e64 v18, v18, v17, s4
	;; [unrolled: 1-line block ×4, first 2 shown]
	s_delay_alu instid0(VALU_DEP_3) | instskip(NEXT) | instid1(VALU_DEP_3)
	v_alignbit_b32 v22, v20, v18, v21
	v_cndmask_b32_e64 v13, v14, v13, s4
	s_delay_alu instid0(VALU_DEP_3) | instskip(NEXT) | instid1(VALU_DEP_3)
	v_alignbit_b32 v23, v18, v17, v21
	v_cndmask_b32_e64 v15, v22, v20, s5
	s_delay_alu instid0(VALU_DEP_3) | instskip(NEXT) | instid1(VALU_DEP_3)
	v_alignbit_b32 v21, v17, v13, v21
	v_cndmask_b32_e64 v18, v23, v18, s5
	s_delay_alu instid0(VALU_DEP_3) | instskip(NEXT) | instid1(VALU_DEP_3)
	v_bfe_u32 v19, v15, 29, 1
	v_cndmask_b32_e64 v17, v21, v17, s5
	s_delay_alu instid0(VALU_DEP_3) | instskip(NEXT) | instid1(VALU_DEP_3)
	v_alignbit_b32 v16, v15, v18, 30
	v_sub_nc_u32_e32 v20, 0, v19
	s_delay_alu instid0(VALU_DEP_3) | instskip(SKIP_1) | instid1(VALU_DEP_3)
	v_alignbit_b32 v18, v18, v17, 30
	v_alignbit_b32 v13, v17, v13, 30
	v_xor_b32_e32 v14, v16, v20
	v_cmp_ne_u32_e32 vcc_lo, v16, v20
	s_delay_alu instid0(VALU_DEP_4) | instskip(NEXT) | instid1(VALU_DEP_4)
	v_xor_b32_e32 v17, v18, v20
	v_xor_b32_e32 v13, v13, v20
	s_delay_alu instid0(VALU_DEP_4) | instskip(NEXT) | instid1(VALU_DEP_1)
	v_clz_i32_u32_e32 v22, v14
	v_add_nc_u32_e32 v21, 1, v22
	s_delay_alu instid0(VALU_DEP_1) | instskip(NEXT) | instid1(VALU_DEP_1)
	v_cndmask_b32_e32 v16, 33, v21, vcc_lo
	v_sub_nc_u32_e32 v18, 32, v16
	s_delay_alu instid0(VALU_DEP_1) | instskip(SKIP_3) | instid1(VALU_DEP_3)
	v_alignbit_b32 v14, v14, v17, v18
	v_alignbit_b32 v13, v17, v13, v18
	v_lshrrev_b32_e32 v17, 29, v15
	v_lshrrev_b32_e32 v15, 30, v15
	v_alignbit_b32 v18, v14, v13, 9
	s_delay_alu instid0(VALU_DEP_3) | instskip(SKIP_1) | instid1(VALU_DEP_3)
	v_lshlrev_b32_e32 v17, 31, v17
	v_alignbit_b32 v14, v16, v14, 9
	v_clz_i32_u32_e32 v20, v18
	s_delay_alu instid0(VALU_DEP_2) | instskip(SKIP_1) | instid1(VALU_DEP_3)
	v_or_b32_e32 v14, v14, v17
	v_or_b32_e32 v17, 0x33800000, v17
	v_min_u32_e32 v20, 32, v20
	s_delay_alu instid0(VALU_DEP_3) | instskip(NEXT) | instid1(VALU_DEP_2)
	v_xor_b32_e32 v14, 1.0, v14
	v_sub_nc_u32_e32 v21, 31, v20
	v_add_lshl_u32 v16, v20, v16, 23
	s_delay_alu instid0(VALU_DEP_3) | instskip(NEXT) | instid1(VALU_DEP_3)
	v_mul_f32_e32 v20, 0x3fc90fda, v14
	v_alignbit_b32 v13, v18, v13, v21
	s_delay_alu instid0(VALU_DEP_3) | instskip(NEXT) | instid1(VALU_DEP_3)
	v_sub_nc_u32_e32 v16, v17, v16
	v_fma_f32 v17, 0x3fc90fda, v14, -v20
	s_delay_alu instid0(VALU_DEP_3) | instskip(NEXT) | instid1(VALU_DEP_2)
	v_lshrrev_b32_e32 v13, 9, v13
	v_fmamk_f32 v14, v14, 0x33a22168, v17
	s_delay_alu instid0(VALU_DEP_2) | instskip(NEXT) | instid1(VALU_DEP_1)
	v_or_b32_e32 v13, v16, v13
                                        ; implicit-def: $vgpr16
	v_fmac_f32_e32 v14, 0x3fc90fda, v13
	s_delay_alu instid0(VALU_DEP_1)
	v_dual_add_f32 v13, v20, v14 :: v_dual_add_nc_u32 v14, v19, v15
	s_and_not1_saveexec_b32 s3, s6
	s_cbranch_execnz .LBB0_15
	s_branch .LBB0_16
.LBB0_14:
	s_and_not1_saveexec_b32 s3, s6
.LBB0_15:
	v_rndne_f32_e32 v14, v16
	s_delay_alu instid0(VALU_DEP_1) | instskip(NEXT) | instid1(VALU_DEP_1)
	v_fma_f32 v13, 0xbfc90fda, v14, |v9|
	v_fmamk_f32 v13, v14, 0xb3a22168, v13
	s_delay_alu instid0(VALU_DEP_1)
	v_fmamk_f32 v13, v14, 0xa7c234c4, v13
	v_cvt_i32_f32_e32 v14, v14
.LBB0_16:
	s_or_b32 exec_lo, exec_lo, s3
	v_add_co_u32 v15, vcc_lo, s20, v0
	v_add_co_ci_u32_e32 v16, vcc_lo, s21, v1, vcc_lo
                                        ; implicit-def: $vgpr18
                                        ; implicit-def: $vgpr17
	global_load_b32 v15, v[15:16], off
	s_waitcnt vmcnt(0)
	v_and_b32_e32 v16, 0x7fffffff, v15
	v_cmp_ngt_f32_e64 s6, 0x48000000, |v15|
	s_delay_alu instid0(VALU_DEP_2) | instskip(NEXT) | instid1(VALU_DEP_2)
	v_lshrrev_b32_e32 v19, 23, v16
	s_and_saveexec_b32 s3, s6
	s_delay_alu instid0(SALU_CYCLE_1)
	s_xor_b32 s7, exec_lo, s3
	s_cbranch_execz .LBB0_18
; %bb.17:
	s_mov_b32 s3, 0x7fffff
	s_delay_alu instid0(SALU_CYCLE_1) | instskip(NEXT) | instid1(VALU_DEP_1)
	v_and_or_b32 v29, v16, s3, 0x800000
	v_mad_u64_u32 v[17:18], null, 0xfe5163ab, v29, 0
	s_delay_alu instid0(VALU_DEP_1) | instskip(SKIP_1) | instid1(VALU_DEP_2)
	v_dual_mov_b32 v21, 0 :: v_dual_mov_b32 v20, v18
	v_add_nc_u32_e32 v18, 0xffffff88, v19
	v_mad_u64_u32 v[22:23], null, 0x3c439041, v29, v[20:21]
	s_delay_alu instid0(VALU_DEP_2) | instskip(SKIP_1) | instid1(VALU_DEP_3)
	v_cmp_lt_u32_e32 vcc_lo, 63, v18
	v_cndmask_b32_e64 v27, 0, 0xffffffc0, vcc_lo
	v_mov_b32_e32 v20, v23
	s_delay_alu instid0(VALU_DEP_2) | instskip(NEXT) | instid1(VALU_DEP_2)
	v_add_nc_u32_e32 v18, v27, v18
	v_mad_u64_u32 v[23:24], null, 0xdb629599, v29, v[20:21]
	s_delay_alu instid0(VALU_DEP_2) | instskip(NEXT) | instid1(VALU_DEP_2)
	v_cmp_lt_u32_e64 s3, 31, v18
	v_mov_b32_e32 v20, v24
	s_delay_alu instid0(VALU_DEP_2) | instskip(NEXT) | instid1(VALU_DEP_4)
	v_cndmask_b32_e64 v28, 0, 0xffffffe0, s3
	v_cndmask_b32_e32 v17, v23, v17, vcc_lo
	s_delay_alu instid0(VALU_DEP_3) | instskip(NEXT) | instid1(VALU_DEP_3)
	v_mad_u64_u32 v[24:25], null, 0xf534ddc0, v29, v[20:21]
	v_add_nc_u32_e32 v18, v28, v18
	s_delay_alu instid0(VALU_DEP_1) | instskip(NEXT) | instid1(VALU_DEP_3)
	v_cmp_lt_u32_e64 s4, 31, v18
	v_mov_b32_e32 v20, v25
	s_delay_alu instid0(VALU_DEP_1) | instskip(NEXT) | instid1(VALU_DEP_1)
	v_mad_u64_u32 v[25:26], null, 0xfc2757d1, v29, v[20:21]
	v_mov_b32_e32 v20, v26
	s_delay_alu instid0(VALU_DEP_1) | instskip(NEXT) | instid1(VALU_DEP_1)
	v_mad_u64_u32 v[26:27], null, 0x4e441529, v29, v[20:21]
	v_mov_b32_e32 v20, v27
	s_delay_alu instid0(VALU_DEP_1) | instskip(SKIP_1) | instid1(VALU_DEP_1)
	v_mad_u64_u32 v[27:28], null, 0xa2f9836e, v29, v[20:21]
	v_cndmask_b32_e64 v20, 0, 0xffffffe0, s4
	v_dual_cndmask_b32 v21, v26, v24 :: v_dual_add_nc_u32 v18, v20, v18
	s_delay_alu instid0(VALU_DEP_3) | instskip(SKIP_1) | instid1(VALU_DEP_3)
	v_dual_cndmask_b32 v27, v27, v25 :: v_dual_cndmask_b32 v26, v28, v26
	v_dual_cndmask_b32 v25, v25, v23 :: v_dual_cndmask_b32 v20, v24, v22
	v_cmp_eq_u32_e64 s5, 0, v18
	s_delay_alu instid0(VALU_DEP_3) | instskip(NEXT) | instid1(VALU_DEP_4)
	v_cndmask_b32_e64 v22, v27, v21, s3
	v_cndmask_b32_e64 v24, v26, v27, s3
	s_delay_alu instid0(VALU_DEP_4)
	v_cndmask_b32_e64 v21, v21, v25, s3
	v_sub_nc_u32_e32 v26, 32, v18
	v_cndmask_b32_e64 v25, v25, v20, s3
	v_cndmask_b32_e64 v17, v20, v17, s3
	;; [unrolled: 1-line block ×4, first 2 shown]
	s_delay_alu instid0(VALU_DEP_4) | instskip(NEXT) | instid1(VALU_DEP_4)
	v_cndmask_b32_e64 v21, v21, v25, s4
	v_cndmask_b32_e64 v17, v25, v17, s4
	s_delay_alu instid0(VALU_DEP_3) | instskip(NEXT) | instid1(VALU_DEP_3)
	v_alignbit_b32 v27, v24, v22, v26
	v_alignbit_b32 v28, v22, v21, v26
	s_delay_alu instid0(VALU_DEP_3) | instskip(NEXT) | instid1(VALU_DEP_3)
	v_alignbit_b32 v26, v21, v17, v26
	v_cndmask_b32_e64 v18, v27, v24, s5
	s_delay_alu instid0(VALU_DEP_3) | instskip(NEXT) | instid1(VALU_DEP_3)
	v_cndmask_b32_e64 v22, v28, v22, s5
	v_cndmask_b32_e64 v21, v26, v21, s5
	s_delay_alu instid0(VALU_DEP_3) | instskip(NEXT) | instid1(VALU_DEP_3)
	v_bfe_u32 v23, v18, 29, 1
	v_alignbit_b32 v20, v18, v22, 30
	s_delay_alu instid0(VALU_DEP_3) | instskip(SKIP_1) | instid1(VALU_DEP_4)
	v_alignbit_b32 v22, v22, v21, 30
	v_alignbit_b32 v17, v21, v17, 30
	v_sub_nc_u32_e32 v24, 0, v23
	s_delay_alu instid0(VALU_DEP_1) | instskip(SKIP_3) | instid1(VALU_DEP_4)
	v_xor_b32_e32 v25, v20, v24
	v_cmp_ne_u32_e32 vcc_lo, v20, v24
	v_xor_b32_e32 v21, v22, v24
	v_xor_b32_e32 v17, v17, v24
	v_clz_i32_u32_e32 v27, v25
	s_delay_alu instid0(VALU_DEP_1) | instskip(NEXT) | instid1(VALU_DEP_1)
	v_add_nc_u32_e32 v26, 1, v27
	v_cndmask_b32_e32 v20, 33, v26, vcc_lo
	s_delay_alu instid0(VALU_DEP_1) | instskip(NEXT) | instid1(VALU_DEP_1)
	v_sub_nc_u32_e32 v22, 32, v20
	v_alignbit_b32 v24, v25, v21, v22
	v_alignbit_b32 v17, v21, v17, v22
	v_lshrrev_b32_e32 v21, 29, v18
	v_lshrrev_b32_e32 v18, 30, v18
	s_delay_alu instid0(VALU_DEP_3) | instskip(NEXT) | instid1(VALU_DEP_3)
	v_alignbit_b32 v22, v24, v17, 9
	v_lshlrev_b32_e32 v21, 31, v21
	v_alignbit_b32 v24, v20, v24, 9
	s_delay_alu instid0(VALU_DEP_4) | instskip(NEXT) | instid1(VALU_DEP_4)
	v_add_nc_u32_e32 v18, v23, v18
	v_clz_i32_u32_e32 v25, v22
	s_delay_alu instid0(VALU_DEP_3) | instskip(SKIP_1) | instid1(VALU_DEP_3)
	v_or_b32_e32 v24, v24, v21
	v_or_b32_e32 v21, 0x33800000, v21
	v_min_u32_e32 v25, 32, v25
	s_delay_alu instid0(VALU_DEP_3) | instskip(NEXT) | instid1(VALU_DEP_2)
	v_xor_b32_e32 v24, 1.0, v24
	v_sub_nc_u32_e32 v26, 31, v25
	v_add_lshl_u32 v20, v25, v20, 23
	s_delay_alu instid0(VALU_DEP_3) | instskip(NEXT) | instid1(VALU_DEP_3)
	v_mul_f32_e32 v25, 0x3fc90fda, v24
	v_alignbit_b32 v17, v22, v17, v26
	s_delay_alu instid0(VALU_DEP_3) | instskip(NEXT) | instid1(VALU_DEP_3)
	v_sub_nc_u32_e32 v20, v21, v20
	v_fma_f32 v21, 0x3fc90fda, v24, -v25
	s_delay_alu instid0(VALU_DEP_3) | instskip(NEXT) | instid1(VALU_DEP_2)
	v_lshrrev_b32_e32 v17, 9, v17
	v_fmamk_f32 v21, v24, 0x33a22168, v21
	s_delay_alu instid0(VALU_DEP_2) | instskip(NEXT) | instid1(VALU_DEP_1)
	v_or_b32_e32 v17, v20, v17
	v_fmac_f32_e32 v21, 0x3fc90fda, v17
	s_delay_alu instid0(VALU_DEP_1)
	v_add_f32_e32 v17, v25, v21
	s_or_saveexec_b32 s3, s7
	v_mul_f32_e64 v20, 0x3f22f983, |v15|
	s_xor_b32 exec_lo, exec_lo, s3
	s_branch .LBB0_19
.LBB0_18:
	s_or_saveexec_b32 s3, s7
	v_mul_f32_e64 v20, 0x3f22f983, |v15|
	s_xor_b32 exec_lo, exec_lo, s3
.LBB0_19:
	s_delay_alu instid0(VALU_DEP_1) | instskip(NEXT) | instid1(VALU_DEP_1)
	v_rndne_f32_e32 v18, v20
	v_fma_f32 v17, 0xbfc90fda, v18, |v15|
	s_delay_alu instid0(VALU_DEP_1) | instskip(NEXT) | instid1(VALU_DEP_1)
	v_fmamk_f32 v17, v18, 0xb3a22168, v17
	v_fmamk_f32 v17, v18, 0xa7c234c4, v17
	v_cvt_i32_f32_e32 v18, v18
; %bb.20:
	s_or_b32 exec_lo, exec_lo, s3
                                        ; implicit-def: $vgpr23
                                        ; implicit-def: $vgpr22
	s_and_saveexec_b32 s3, s6
	s_delay_alu instid0(SALU_CYCLE_1)
	s_xor_b32 s6, exec_lo, s3
	s_cbranch_execz .LBB0_22
; %bb.21:
	s_mov_b32 s3, 0x7fffff
	v_mov_b32_e32 v22, 0
	v_and_or_b32 v30, v16, s3, 0x800000
	s_delay_alu instid0(VALU_DEP_1) | instskip(NEXT) | instid1(VALU_DEP_1)
	v_mad_u64_u32 v[20:21], null, 0xfe5163ab, v30, 0
	v_mad_u64_u32 v[23:24], null, 0x3c439041, v30, v[21:22]
	s_delay_alu instid0(VALU_DEP_1) | instskip(NEXT) | instid1(VALU_DEP_1)
	v_mov_b32_e32 v21, v24
	v_mad_u64_u32 v[24:25], null, 0xdb629599, v30, v[21:22]
	v_add_nc_u32_e32 v19, 0xffffff88, v19
	s_delay_alu instid0(VALU_DEP_1) | instskip(NEXT) | instid1(VALU_DEP_3)
	v_cmp_lt_u32_e32 vcc_lo, 63, v19
	v_mov_b32_e32 v21, v25
	v_cndmask_b32_e64 v28, 0, 0xffffffc0, vcc_lo
	s_delay_alu instid0(VALU_DEP_2) | instskip(SKIP_1) | instid1(VALU_DEP_3)
	v_mad_u64_u32 v[25:26], null, 0xf534ddc0, v30, v[21:22]
	v_cndmask_b32_e32 v20, v24, v20, vcc_lo
	v_add_nc_u32_e32 v19, v28, v19
	s_delay_alu instid0(VALU_DEP_3) | instskip(NEXT) | instid1(VALU_DEP_2)
	v_mov_b32_e32 v21, v26
	v_cmp_lt_u32_e64 s3, 31, v19
	s_delay_alu instid0(VALU_DEP_2) | instskip(NEXT) | instid1(VALU_DEP_2)
	v_mad_u64_u32 v[26:27], null, 0xfc2757d1, v30, v[21:22]
	v_cndmask_b32_e64 v29, 0, 0xffffffe0, s3
	s_delay_alu instid0(VALU_DEP_1) | instskip(NEXT) | instid1(VALU_DEP_3)
	v_add_nc_u32_e32 v19, v29, v19
	v_mov_b32_e32 v21, v27
	s_delay_alu instid0(VALU_DEP_2) | instskip(NEXT) | instid1(VALU_DEP_2)
	v_cmp_lt_u32_e64 s4, 31, v19
	v_mad_u64_u32 v[27:28], null, 0x4e441529, v30, v[21:22]
	s_delay_alu instid0(VALU_DEP_1) | instskip(NEXT) | instid1(VALU_DEP_1)
	v_mov_b32_e32 v21, v28
	v_mad_u64_u32 v[28:29], null, 0xa2f9836e, v30, v[21:22]
	s_delay_alu instid0(VALU_DEP_4) | instskip(NEXT) | instid1(VALU_DEP_1)
	v_cndmask_b32_e64 v21, 0, 0xffffffe0, s4
	v_dual_cndmask_b32 v22, v27, v25 :: v_dual_add_nc_u32 v19, v21, v19
	s_delay_alu instid0(VALU_DEP_3) | instskip(SKIP_1) | instid1(VALU_DEP_3)
	v_dual_cndmask_b32 v28, v28, v26 :: v_dual_cndmask_b32 v27, v29, v27
	v_dual_cndmask_b32 v26, v26, v24 :: v_dual_cndmask_b32 v21, v25, v23
	v_cmp_eq_u32_e64 s5, 0, v19
	s_delay_alu instid0(VALU_DEP_3) | instskip(NEXT) | instid1(VALU_DEP_4)
	v_cndmask_b32_e64 v23, v28, v22, s3
	v_cndmask_b32_e64 v25, v27, v28, s3
	s_delay_alu instid0(VALU_DEP_4)
	v_cndmask_b32_e64 v22, v22, v26, s3
	v_sub_nc_u32_e32 v27, 32, v19
	v_cndmask_b32_e64 v26, v26, v21, s3
	v_cndmask_b32_e64 v20, v21, v20, s3
	;; [unrolled: 1-line block ×4, first 2 shown]
	s_delay_alu instid0(VALU_DEP_4) | instskip(NEXT) | instid1(VALU_DEP_4)
	v_cndmask_b32_e64 v22, v22, v26, s4
	v_cndmask_b32_e64 v20, v26, v20, s4
	s_delay_alu instid0(VALU_DEP_3) | instskip(NEXT) | instid1(VALU_DEP_3)
	v_alignbit_b32 v28, v25, v23, v27
	v_alignbit_b32 v29, v23, v22, v27
	s_delay_alu instid0(VALU_DEP_3) | instskip(NEXT) | instid1(VALU_DEP_3)
	v_alignbit_b32 v27, v22, v20, v27
	v_cndmask_b32_e64 v19, v28, v25, s5
	s_delay_alu instid0(VALU_DEP_3) | instskip(NEXT) | instid1(VALU_DEP_3)
	v_cndmask_b32_e64 v23, v29, v23, s5
	v_cndmask_b32_e64 v22, v27, v22, s5
	s_delay_alu instid0(VALU_DEP_3) | instskip(NEXT) | instid1(VALU_DEP_3)
	v_bfe_u32 v24, v19, 29, 1
	v_alignbit_b32 v21, v19, v23, 30
	s_delay_alu instid0(VALU_DEP_3) | instskip(SKIP_1) | instid1(VALU_DEP_4)
	v_alignbit_b32 v23, v23, v22, 30
	v_alignbit_b32 v20, v22, v20, 30
	v_sub_nc_u32_e32 v25, 0, v24
	s_delay_alu instid0(VALU_DEP_1) | instskip(SKIP_3) | instid1(VALU_DEP_4)
	v_xor_b32_e32 v26, v21, v25
	v_cmp_ne_u32_e32 vcc_lo, v21, v25
	v_xor_b32_e32 v22, v23, v25
	v_xor_b32_e32 v20, v20, v25
	v_clz_i32_u32_e32 v28, v26
	s_delay_alu instid0(VALU_DEP_1) | instskip(NEXT) | instid1(VALU_DEP_1)
	v_add_nc_u32_e32 v27, 1, v28
	v_cndmask_b32_e32 v21, 33, v27, vcc_lo
	s_delay_alu instid0(VALU_DEP_1) | instskip(NEXT) | instid1(VALU_DEP_1)
	v_sub_nc_u32_e32 v23, 32, v21
	v_alignbit_b32 v25, v26, v22, v23
	v_alignbit_b32 v20, v22, v20, v23
	v_lshrrev_b32_e32 v22, 29, v19
	v_lshrrev_b32_e32 v19, 30, v19
	s_delay_alu instid0(VALU_DEP_3) | instskip(NEXT) | instid1(VALU_DEP_3)
	v_alignbit_b32 v23, v25, v20, 9
	v_lshlrev_b32_e32 v22, 31, v22
	v_alignbit_b32 v25, v21, v25, 9
	s_delay_alu instid0(VALU_DEP_3) | instskip(NEXT) | instid1(VALU_DEP_2)
	v_clz_i32_u32_e32 v26, v23
	v_or_b32_e32 v25, v25, v22
	v_or_b32_e32 v22, 0x33800000, v22
	s_delay_alu instid0(VALU_DEP_3) | instskip(NEXT) | instid1(VALU_DEP_3)
	v_min_u32_e32 v26, 32, v26
	v_xor_b32_e32 v25, 1.0, v25
	s_delay_alu instid0(VALU_DEP_2) | instskip(SKIP_1) | instid1(VALU_DEP_3)
	v_sub_nc_u32_e32 v27, 31, v26
	v_add_lshl_u32 v21, v26, v21, 23
	v_mul_f32_e32 v26, 0x3fc90fda, v25
	s_delay_alu instid0(VALU_DEP_3) | instskip(NEXT) | instid1(VALU_DEP_3)
	v_alignbit_b32 v20, v23, v20, v27
	v_sub_nc_u32_e32 v21, v22, v21
	s_delay_alu instid0(VALU_DEP_3) | instskip(SKIP_1) | instid1(VALU_DEP_4)
	v_fma_f32 v22, 0x3fc90fda, v25, -v26
	v_add_nc_u32_e32 v23, v24, v19
	v_lshrrev_b32_e32 v20, 9, v20
	s_delay_alu instid0(VALU_DEP_3) | instskip(NEXT) | instid1(VALU_DEP_2)
	v_fmamk_f32 v22, v25, 0x33a22168, v22
	v_or_b32_e32 v20, v21, v20
	s_delay_alu instid0(VALU_DEP_1) | instskip(NEXT) | instid1(VALU_DEP_1)
	v_fmac_f32_e32 v22, 0x3fc90fda, v20
                                        ; implicit-def: $vgpr20
	v_add_f32_e32 v22, v26, v22
	s_and_not1_saveexec_b32 s3, s6
	s_cbranch_execnz .LBB0_23
	s_branch .LBB0_24
.LBB0_22:
	s_and_not1_saveexec_b32 s3, s6
.LBB0_23:
	v_rndne_f32_e32 v19, v20
	s_delay_alu instid0(VALU_DEP_1) | instskip(SKIP_1) | instid1(VALU_DEP_2)
	v_fma_f32 v20, 0xbfc90fda, v19, |v15|
	v_cvt_i32_f32_e32 v23, v19
	v_fmamk_f32 v20, v19, 0xb3a22168, v20
	s_delay_alu instid0(VALU_DEP_1)
	v_fmamk_f32 v22, v19, 0xa7c234c4, v20
.LBB0_24:
	s_or_b32 exec_lo, exec_lo, s3
	v_add_co_u32 v19, vcc_lo, s22, v0
	v_add_co_ci_u32_e32 v20, vcc_lo, s23, v1, vcc_lo
	v_add_co_u32 v24, vcc_lo, s24, v0
	v_add_co_ci_u32_e32 v25, vcc_lo, s25, v1, vcc_lo
	;; [unrolled: 2-line block ×3, first 2 shown]
	global_load_b32 v19, v[19:20], off
	global_load_b32 v20, v[24:25], off
	;; [unrolled: 1-line block ×3, first 2 shown]
	v_and_b32_e32 v26, 1, v18
	v_lshlrev_b32_e32 v18, 30, v18
	v_mul_f32_e32 v0, v17, v17
	s_mov_b32 s5, 0xb94c1982
	s_mov_b32 s6, 0x37d75334
	v_cmp_eq_u32_e32 vcc_lo, 0, v26
	v_xor_b32_e32 v16, v16, v15
	v_fmaak_f32 v1, s5, v0, 0x3c0881c4
	v_xor_b32_e32 v10, v10, v9
	v_xor_b32_e32 v3, v3, v2
	s_mov_b32 s21, 0
	v_mul_f32_e32 v25, v13, v13
	v_fmaak_f32 v1, v0, v1, 0xbe2aaa9d
	v_fmaak_f32 v24, s6, v0, 0xbab64f3b
	s_mov_b32 s20, s21
	s_load_b128 s[16:19], s[0:1], 0x48
	s_delay_alu instid0(VALU_DEP_2) | instskip(NEXT) | instid1(VALU_DEP_1)
	v_mul_f32_e32 v1, v0, v1
	v_dual_fmaak_f32 v24, v0, v24, 0x3d2aabf7 :: v_dual_fmac_f32 v17, v17, v1
	s_delay_alu instid0(VALU_DEP_1) | instskip(SKIP_1) | instid1(VALU_DEP_2)
	v_fmaak_f32 v24, v0, v24, 0xbf000004
	v_fmaak_f32 v1, s5, v25, 0x3c0881c4
	v_fma_f32 v0, v0, v24, 1.0
	v_fmaak_f32 v24, s6, v25, 0xbab64f3b
	s_delay_alu instid0(VALU_DEP_2) | instskip(NEXT) | instid1(VALU_DEP_2)
	v_dual_cndmask_b32 v0, v0, v17 :: v_dual_and_b32 v17, 0x80000000, v18
	v_fmaak_f32 v18, v25, v24, 0x3d2aabf7
	v_mul_f32_e32 v24, v11, v11
	s_delay_alu instid0(VALU_DEP_3) | instskip(SKIP_2) | instid1(VALU_DEP_2)
	v_xor3_b32 v0, v16, v17, v0
	v_and_b32_e32 v16, 1, v14
	v_dual_fmaak_f32 v1, v25, v1, 0xbe2aaa9d :: v_dual_lshlrev_b32 v14, 30, v14
	v_cmp_eq_u32_e32 vcc_lo, 0, v16
	s_delay_alu instid0(VALU_DEP_2) | instskip(NEXT) | instid1(VALU_DEP_1)
	v_dual_mul_f32 v1, v25, v1 :: v_dual_and_b32 v14, 0x80000000, v14
	v_fmac_f32_e32 v13, v13, v1
	v_fmaak_f32 v1, s5, v24, 0x3c0881c4
	s_delay_alu instid0(VALU_DEP_1) | instskip(NEXT) | instid1(VALU_DEP_1)
	v_fmaak_f32 v1, v24, v1, 0xbe2aaa9d
	v_dual_mul_f32 v1, v24, v1 :: v_dual_fmaak_f32 v18, v25, v18, 0xbf000004
	s_delay_alu instid0(VALU_DEP_1) | instskip(NEXT) | instid1(VALU_DEP_2)
	v_fmac_f32_e32 v11, v11, v1
	v_fma_f32 v17, v25, v18, 1.0
	v_fmaak_f32 v18, s6, v24, 0xbab64f3b
	v_and_b32_e32 v1, 1, v12
	v_lshlrev_b32_e32 v12, 30, v12
	s_delay_alu instid0(VALU_DEP_4) | instskip(NEXT) | instid1(VALU_DEP_4)
	v_cndmask_b32_e64 v13, -v13, v17, vcc_lo
	v_fmaak_f32 v16, v24, v18, 0x3d2aabf7
	v_cmp_class_f32_e64 vcc_lo, v15, 0x1f8
	v_mul_f32_e32 v17, v8, v8
	v_cmp_eq_u32_e64 s3, 0, v1
	s_delay_alu instid0(VALU_DEP_4) | instskip(SKIP_1) | instid1(VALU_DEP_2)
	v_fmaak_f32 v15, v24, v16, 0xbf000004
	v_cndmask_b32_e32 v0, 0x7fc00000, v0, vcc_lo
	v_fma_f32 v15, v24, v15, 1.0
	s_delay_alu instid0(VALU_DEP_1)
	v_cndmask_b32_e64 v1, v15, v11, s3
	v_mul_f32_e32 v15, v5, v5
	v_xor_b32_e32 v13, v14, v13
	v_fmaak_f32 v14, s5, v17, 0x3c0881c4
	v_fmaak_f32 v16, s6, v17, 0xbab64f3b
	v_cmp_class_f32_e64 s3, v9, 0x1f8
	s_delay_alu instid0(VALU_DEP_3) | instskip(SKIP_1) | instid1(VALU_DEP_3)
	v_fmaak_f32 v14, v17, v14, 0xbe2aaa9d
	v_and_b32_e32 v11, 0x80000000, v12
	v_cndmask_b32_e64 v9, 0x7fc00000, v13, s3
	v_fmaak_f32 v13, s6, v15, 0xbab64f3b
	v_fmaak_f32 v12, v17, v16, 0x3d2aabf7
	s_delay_alu instid0(VALU_DEP_4) | instskip(SKIP_3) | instid1(VALU_DEP_3)
	v_xor3_b32 v1, v10, v11, v1
	v_dual_mul_f32 v14, v17, v14 :: v_dual_and_b32 v11, 1, v7
	v_fmaak_f32 v10, s5, v15, 0x3c0881c4
	v_lshlrev_b32_e32 v7, 30, v7
	v_cmp_eq_u32_e64 s4, 0, v11
	v_fmaak_f32 v11, v15, v13, 0x3d2aabf7
	v_fmaak_f32 v12, v17, v12, 0xbf000004
	v_fmac_f32_e32 v8, v8, v14
	v_fmaak_f32 v10, v15, v10, 0xbe2aaa9d
	v_dual_mul_f32 v14, v22, v22 :: v_dual_and_b32 v7, 0x80000000, v7
	s_delay_alu instid0(VALU_DEP_4) | instskip(SKIP_1) | instid1(VALU_DEP_4)
	v_fma_f32 v12, v17, v12, 1.0
	v_fmaak_f32 v11, v15, v11, 0xbf000004
	v_mul_f32_e32 v10, v15, v10
	s_delay_alu instid0(VALU_DEP_4) | instskip(NEXT) | instid1(VALU_DEP_4)
	v_fmaak_f32 v13, s6, v14, 0xbab64f3b
	v_cndmask_b32_e64 v8, -v8, v12, s4
	v_fmaak_f32 v12, s5, v14, 0x3c0881c4
	s_delay_alu instid0(VALU_DEP_4)
	v_fmac_f32_e32 v5, v5, v10
	v_fma_f32 v11, v15, v11, 1.0
	v_mov_b32_e32 v15, 0
	v_xor_b32_e32 v7, v7, v8
	v_fmaak_f32 v10, v14, v12, 0xbe2aaa9d
	v_dual_fmaak_f32 v12, v14, v13, 0x3d2aabf7 :: v_dual_and_b32 v13, 1, v6
	s_delay_alu instid0(VALU_DEP_1) | instskip(NEXT) | instid1(VALU_DEP_1)
	v_cmp_eq_u32_e64 s4, 0, v13
	v_cndmask_b32_e64 v11, v11, v5, s4
	s_delay_alu instid0(VALU_DEP_3) | instskip(SKIP_1) | instid1(VALU_DEP_2)
	v_dual_fmaak_f32 v12, v14, v12, 0xbf000004 :: v_dual_lshlrev_b32 v5, 30, v6
	v_and_b32_e32 v6, 1, v23
	v_and_b32_e32 v13, 0x80000000, v5
	v_cndmask_b32_e64 v5, 0x7fc00000, v1, s3
	v_cmp_class_f32_e64 s3, v2, 0x1f8
	s_delay_alu instid0(VALU_DEP_4) | instskip(NEXT) | instid1(VALU_DEP_4)
	v_cmp_eq_u32_e64 s4, 0, v6
	v_xor3_b32 v1, v3, v13, v11
	v_mul_f32_e32 v11, v9, v0
	s_delay_alu instid0(VALU_DEP_4) | instskip(NEXT) | instid1(VALU_DEP_3)
	v_cndmask_b32_e64 v3, 0x7fc00000, v7, s3
	v_cndmask_b32_e64 v1, 0x7fc00000, v1, s3
	s_delay_alu instid0(VALU_DEP_1) | instskip(NEXT) | instid1(VALU_DEP_1)
	v_dual_mul_f32 v10, v14, v10 :: v_dual_mul_f32 v13, v1, v5
	v_fmac_f32_e32 v22, v22, v10
	v_fma_f32 v10, v14, v12, 1.0
	v_lshlrev_b32_e32 v12, 30, v23
	s_delay_alu instid0(VALU_DEP_2) | instskip(NEXT) | instid1(VALU_DEP_2)
	v_cndmask_b32_e64 v6, -v22, v10, s4
	v_and_b32_e32 v10, 0x80000000, v12
	s_load_b64 s[4:5], s[0:1], 0x0
	v_mul_f32_e32 v12, v3, v5
	s_delay_alu instid0(VALU_DEP_2) | instskip(SKIP_1) | instid1(VALU_DEP_2)
	v_xor_b32_e32 v2, v10, v6
	v_mul_f32_e32 v10, v3, v0
	v_cndmask_b32_e32 v2, 0x7fc00000, v2, vcc_lo
	s_delay_alu instid0(VALU_DEP_1)
	v_mul_f32_e32 v6, v12, v2
	v_mul_f32_e32 v8, v3, v2
	;; [unrolled: 1-line block ×4, first 2 shown]
	v_fma_f32 v10, v13, v2, -v10
	v_fmac_f32_e32 v6, v1, v0
	v_fmac_f32_e32 v8, v13, v0
	v_fma_f32 v12, v12, v0, -v14
	v_mul_f32_e32 v13, v1, v9
	v_dual_mul_f32 v14, v3, v9 :: v_dual_mov_b32 v9, 0
	s_waitcnt lgkmcnt(0)
	s_max_i32 s11, s5, 1
	s_max_i32 s24, s4, 1
	s_add_u32 s12, s12, 8
	s_addc_u32 s13, s13, 0
.LBB0_25:                               ; =>This Loop Header: Depth=1
                                        ;     Child Loop BB0_26 Depth 2
	s_lshl_b64 s[0:1], s[20:21], 4
	s_mov_b32 s25, s11
	s_add_u32 s0, s14, s0
	s_addc_u32 s1, s15, s1
	s_mov_b64 s[22:23], s[12:13]
	global_load_b128 v[22:25], v15, s[0:1]
	s_waitcnt vmcnt(0)
	v_ashrrev_i32_e32 v1, 31, v25
	v_fma_f32 v17, v11, v22, v20
	v_mov_b32_e32 v0, v25
	v_fma_f32 v16, v7, v22, v19
	v_fma_f32 v18, -v5, v22, v21
	s_delay_alu instid0(VALU_DEP_4) | instskip(NEXT) | instid1(VALU_DEP_4)
	v_fmac_f32_e32 v17, v8, v23
	v_lshlrev_b64 v[0:1], 4, v[0:1]
	s_delay_alu instid0(VALU_DEP_4) | instskip(NEXT) | instid1(VALU_DEP_3)
	v_fmac_f32_e32 v16, v10, v23
	v_dual_fmac_f32 v18, v13, v23 :: v_dual_fmac_f32 v17, v12, v24
	s_delay_alu instid0(VALU_DEP_3) | instskip(NEXT) | instid1(VALU_DEP_4)
	v_add_co_u32 v0, vcc_lo, s18, v0
	v_add_co_ci_u32_e32 v1, vcc_lo, s19, v1, vcc_lo
	s_delay_alu instid0(VALU_DEP_4) | instskip(NEXT) | instid1(VALU_DEP_4)
	v_fmac_f32_e32 v16, v6, v24
	v_fmac_f32_e32 v18, v14, v24
	global_load_b128 v[0:3], v[0:1], off
	s_waitcnt vmcnt(0)
	v_cmp_gt_f32_e64 s1, 0, v2
	v_cmp_lt_f32_e64 s0, 0, v2
	v_cmp_eq_u32_e64 s3, 0x46, v0
	v_cmp_eq_u32_e64 s4, 0x45, v0
	s_delay_alu instid0(VALU_DEP_4)
	v_cndmask_b32_e64 v0, 1.0, 0x40b00000, s1
	v_cndmask_b32_e64 v22, 0xff7fffff, 1.0, s1
.LBB0_26:                               ;   Parent Loop BB0_25 Depth=1
                                        ; =>  This Inner Loop Header: Depth=2
	global_load_b128 v[23:26], v15, s[22:23] offset:-8
	s_waitcnt vmcnt(0)
	v_ashrrev_i32_e32 v27, 31, v26
	v_dual_sub_f32 v24, v17, v24 :: v_dual_sub_f32 v23, v16, v23
	v_sub_f32_e32 v25, v18, v25
	s_delay_alu instid0(VALU_DEP_3) | instskip(NEXT) | instid1(VALU_DEP_3)
	v_lshlrev_b64 v[26:27], 4, v[26:27]
	v_mul_f32_e32 v24, v24, v24
	s_delay_alu instid0(VALU_DEP_1) | instskip(NEXT) | instid1(VALU_DEP_3)
	v_fmac_f32_e32 v24, v23, v23
	v_add_co_u32 v26, vcc_lo, s18, v26
	s_delay_alu instid0(VALU_DEP_4) | instskip(NEXT) | instid1(VALU_DEP_3)
	v_add_co_ci_u32_e32 v27, vcc_lo, s19, v27, vcc_lo
	v_fmac_f32_e32 v24, v25, v25
	global_load_b128 v[26:29], v[26:27], off
	v_cmp_gt_f32_e32 vcc_lo, 0xf800000, v24
	v_mul_f32_e32 v23, 0x4f800000, v24
	s_delay_alu instid0(VALU_DEP_1) | instskip(NEXT) | instid1(VALU_DEP_1)
	v_cndmask_b32_e32 v23, v24, v23, vcc_lo
	v_sqrt_f32_e32 v24, v23
	s_waitcnt_depctr 0xfff
	v_add_nc_u32_e32 v30, 1, v24
	v_add_nc_u32_e32 v25, -1, v24
	s_delay_alu instid0(VALU_DEP_2) | instskip(NEXT) | instid1(VALU_DEP_2)
	v_fma_f32 v32, -v30, v24, v23
	v_fma_f32 v31, -v25, v24, v23
	s_delay_alu instid0(VALU_DEP_1) | instskip(NEXT) | instid1(VALU_DEP_1)
	v_cmp_ge_f32_e64 s5, 0, v31
	v_cndmask_b32_e64 v24, v24, v25, s5
	s_delay_alu instid0(VALU_DEP_4) | instskip(NEXT) | instid1(VALU_DEP_1)
	v_cmp_lt_f32_e64 s5, 0, v32
	v_cndmask_b32_e64 v24, v24, v30, s5
	s_delay_alu instid0(VALU_DEP_1) | instskip(NEXT) | instid1(VALU_DEP_1)
	v_mul_f32_e32 v25, 0x37800000, v24
	v_cndmask_b32_e32 v24, v24, v25, vcc_lo
	v_cmp_class_f32_e64 vcc_lo, v23, 0x260
	s_delay_alu instid0(VALU_DEP_2)
	v_cndmask_b32_e32 v23, v24, v23, vcc_lo
	s_waitcnt vmcnt(0)
	v_add_f32_e32 v24, v1, v27
	v_cmp_eq_u32_e32 vcc_lo, 0x46, v26
	v_cmp_eq_u32_e64 s5, 0x45, v26
	v_cmp_gt_f32_e64 s8, 0, v28
	v_mul_f32_e32 v26, v3, v29
	v_div_scale_f32 v27, null, v24, v24, 1.0
	s_and_b32 s10, vcc_lo, s3
	v_div_scale_f32 v29, s9, 1.0, v24, 1.0
	s_delay_alu instid0(VALU_DEP_2)
	v_rcp_f32_e32 v33, v27
	v_cndmask_b32_e64 v30, 2.0, 4.0, s10
	v_sub_f32_e32 v34, v23, v24
	v_cndmask_b32_e64 v25, v22, v0, s8
	v_cmp_lt_f32_e64 s6, 0, v28
	s_and_b32 s8, s8, s0
	v_cndmask_b32_e64 v37, 0.5, 0x3e800000, s10
	v_cmp_lt_f32_e32 vcc_lo, v34, v30
	v_div_scale_f32 v31, null, v25, v25, 1.0
	s_delay_alu instid0(TRANS32_DEP_1)
	v_fma_f32 v38, -v27, v33, 1.0
	s_and_b32 s6, s6, s1
	v_cmp_neq_f32_e64 s7, 0, v28
	v_cndmask_b32_e64 v28, v28, -v28, s8
	v_cndmask_b32_e64 v32, v2, -v2, s6
	v_fmac_f32_e32 v33, v38, v33
	v_rcp_f32_e32 v35, v31
	v_cmp_gt_f32_e64 s8, 0, v34
	v_fma_f32 v37, -v34, v37, 1.0
	v_cndmask_b32_e64 v38, 0, 1.0, vcc_lo
	v_mul_f32_e32 v30, v29, v33
	s_mov_b32 vcc_lo, s9
	v_div_scale_f32 v36, s6, 1.0, v25, 1.0
	v_cndmask_b32_e64 v39, 0, 0x42980000, s8
	s_delay_alu instid0(VALU_DEP_3) | instskip(NEXT) | instid1(TRANS32_DEP_1)
	v_fma_f32 v41, -v27, v30, v29
	v_fma_f32 v40, -v31, v35, 1.0
	s_or_b32 s5, s5, s4
	s_delay_alu instid0(VALU_DEP_1) | instskip(NEXT) | instid1(VALU_DEP_1)
	v_dual_fmac_f32 v30, v41, v33 :: v_dual_fmac_f32 v35, v40, v35
	v_fma_f32 v27, -v27, v30, v29
	v_cndmask_b32_e64 v29, v37, 1.0, s8
	s_delay_alu instid0(VALU_DEP_2) | instskip(NEXT) | instid1(VALU_DEP_2)
	v_div_fmas_f32 v27, v27, v33, v30
	v_mul_f32_e32 v29, v38, v29
	v_cmp_lt_f32_e64 s10, v34, v25
	s_mov_b32 vcc_lo, s6
	s_delay_alu instid0(VALU_DEP_3) | instskip(SKIP_1) | instid1(VALU_DEP_3)
	v_div_fixup_f32 v24, v27, v24, 1.0
	v_add_f32_e32 v27, v28, v32
	s_and_b32 s6, s7, s10
	s_add_u32 s22, s22, 16
	s_addc_u32 s23, s23, 0
	v_fma_f32 v23, -v23, v24, 1.0
	v_cndmask_b32_e64 v24, 0, 1.0, s6
	v_mul_f32_e32 v40, v36, v35
	v_mul_f32_e32 v26, v26, v29
	s_add_i32 s25, s25, -1
	v_fmac_f32_e32 v9, v23, v39
	v_mul_f32_e32 v23, v27, v24
	v_fma_f32 v42, -v31, v40, v36
	v_cndmask_b32_e64 v26, v26, -|v26|, s5
	s_cmp_lg_u32 s25, 0
	s_delay_alu instid0(VALU_DEP_1) | instskip(NEXT) | instid1(VALU_DEP_1)
	v_dual_fmac_f32 v40, v42, v35 :: v_dual_fmac_f32 v9, 0x42340000, v26
	v_fma_f32 v31, -v31, v40, v36
	s_delay_alu instid0(VALU_DEP_1) | instskip(NEXT) | instid1(VALU_DEP_1)
	v_div_fmas_f32 v30, v31, v35, v40
	v_div_fixup_f32 v25, v30, v25, 1.0
	s_delay_alu instid0(VALU_DEP_1) | instskip(NEXT) | instid1(VALU_DEP_1)
	v_fma_f32 v25, -v34, v25, 1.0
	v_cndmask_b32_e64 v24, v25, 1.0, s8
	s_delay_alu instid0(VALU_DEP_1)
	v_fmac_f32_e32 v9, v23, v24
	s_cbranch_scc1 .LBB0_26
; %bb.27:                               ;   in Loop: Header=BB0_25 Depth=1
	s_add_i32 s20, s20, 1
	s_delay_alu instid0(SALU_CYCLE_1)
	s_cmp_lg_u32 s20, s24
	s_cbranch_scc1 .LBB0_25
; %bb.28:
	s_and_saveexec_b32 s0, s2
	s_cbranch_execz .LBB0_30
; %bb.29:
	v_dual_mov_b32 v5, 0 :: v_dual_mul_f32 v2, 0.5, v9
	s_delay_alu instid0(VALU_DEP_1) | instskip(NEXT) | instid1(VALU_DEP_1)
	v_lshlrev_b64 v[0:1], 2, v[4:5]
	v_add_co_u32 v0, vcc_lo, s16, v0
	s_delay_alu instid0(VALU_DEP_2)
	v_add_co_ci_u32_e32 v1, vcc_lo, s17, v1, vcc_lo
	global_store_b32 v[0:1], v2, off
.LBB0_30:
	s_nop 0
	s_sendmsg sendmsg(MSG_DEALLOC_VGPRS)
	s_endpgm
	.section	.rodata,"a",@progbits
	.p2align	6, 0x0
	.amdhsa_kernel _ZL11fasten_mainILm1EEviiPK4AtomS2_PKfS4_S4_S4_S4_S4_PfPK8FFParamsi
		.amdhsa_group_segment_fixed_size 0
		.amdhsa_private_segment_fixed_size 0
		.amdhsa_kernarg_size 352
		.amdhsa_user_sgpr_count 15
		.amdhsa_user_sgpr_dispatch_ptr 0
		.amdhsa_user_sgpr_queue_ptr 0
		.amdhsa_user_sgpr_kernarg_segment_ptr 1
		.amdhsa_user_sgpr_dispatch_id 0
		.amdhsa_user_sgpr_private_segment_size 0
		.amdhsa_wavefront_size32 1
		.amdhsa_uses_dynamic_stack 0
		.amdhsa_enable_private_segment 0
		.amdhsa_system_sgpr_workgroup_id_x 1
		.amdhsa_system_sgpr_workgroup_id_y 0
		.amdhsa_system_sgpr_workgroup_id_z 0
		.amdhsa_system_sgpr_workgroup_info 0
		.amdhsa_system_vgpr_workitem_id 0
		.amdhsa_next_free_vgpr 43
		.amdhsa_next_free_sgpr 28
		.amdhsa_reserve_vcc 1
		.amdhsa_float_round_mode_32 0
		.amdhsa_float_round_mode_16_64 0
		.amdhsa_float_denorm_mode_32 3
		.amdhsa_float_denorm_mode_16_64 3
		.amdhsa_dx10_clamp 1
		.amdhsa_ieee_mode 1
		.amdhsa_fp16_overflow 0
		.amdhsa_workgroup_processor_mode 1
		.amdhsa_memory_ordered 1
		.amdhsa_forward_progress 0
		.amdhsa_shared_vgpr_count 0
		.amdhsa_exception_fp_ieee_invalid_op 0
		.amdhsa_exception_fp_denorm_src 0
		.amdhsa_exception_fp_ieee_div_zero 0
		.amdhsa_exception_fp_ieee_overflow 0
		.amdhsa_exception_fp_ieee_underflow 0
		.amdhsa_exception_fp_ieee_inexact 0
		.amdhsa_exception_int_div_zero 0
	.end_amdhsa_kernel
	.section	.text._ZL11fasten_mainILm1EEviiPK4AtomS2_PKfS4_S4_S4_S4_S4_PfPK8FFParamsi,"axG",@progbits,_ZL11fasten_mainILm1EEviiPK4AtomS2_PKfS4_S4_S4_S4_S4_PfPK8FFParamsi,comdat
.Lfunc_end0:
	.size	_ZL11fasten_mainILm1EEviiPK4AtomS2_PKfS4_S4_S4_S4_S4_PfPK8FFParamsi, .Lfunc_end0-_ZL11fasten_mainILm1EEviiPK4AtomS2_PKfS4_S4_S4_S4_S4_PfPK8FFParamsi
                                        ; -- End function
	.section	.AMDGPU.csdata,"",@progbits
; Kernel info:
; codeLenInByte = 6940
; NumSgprs: 30
; NumVgprs: 43
; ScratchSize: 0
; MemoryBound: 0
; FloatMode: 240
; IeeeMode: 1
; LDSByteSize: 0 bytes/workgroup (compile time only)
; SGPRBlocks: 3
; VGPRBlocks: 5
; NumSGPRsForWavesPerEU: 30
; NumVGPRsForWavesPerEU: 43
; Occupancy: 16
; WaveLimiterHint : 1
; COMPUTE_PGM_RSRC2:SCRATCH_EN: 0
; COMPUTE_PGM_RSRC2:USER_SGPR: 15
; COMPUTE_PGM_RSRC2:TRAP_HANDLER: 0
; COMPUTE_PGM_RSRC2:TGID_X_EN: 1
; COMPUTE_PGM_RSRC2:TGID_Y_EN: 0
; COMPUTE_PGM_RSRC2:TGID_Z_EN: 0
; COMPUTE_PGM_RSRC2:TIDIG_COMP_CNT: 0
	.section	.text._ZL11fasten_mainILm2EEviiPK4AtomS2_PKfS4_S4_S4_S4_S4_PfPK8FFParamsi,"axG",@progbits,_ZL11fasten_mainILm2EEviiPK4AtomS2_PKfS4_S4_S4_S4_S4_PfPK8FFParamsi,comdat
	.globl	_ZL11fasten_mainILm2EEviiPK4AtomS2_PKfS4_S4_S4_S4_S4_PfPK8FFParamsi ; -- Begin function _ZL11fasten_mainILm2EEviiPK4AtomS2_PKfS4_S4_S4_S4_S4_PfPK8FFParamsi
	.p2align	8
	.type	_ZL11fasten_mainILm2EEviiPK4AtomS2_PKfS4_S4_S4_S4_S4_PfPK8FFParamsi,@function
_ZL11fasten_mainILm2EEviiPK4AtomS2_PKfS4_S4_S4_S4_S4_PfPK8FFParamsi: ; @_ZL11fasten_mainILm2EEviiPK4AtomS2_PKfS4_S4_S4_S4_S4_PfPK8FFParamsi
; %bb.0:
	s_clause 0x2
	s_load_b32 s2, s[0:1], 0x6c
	s_load_b32 s3, s[0:1], 0x58
	s_load_b512 s[16:31], s[0:1], 0x8
	v_add_nc_u32_e64 v5, 0, 48
	v_mov_b32_e32 v7, 0
	v_mov_b32_e32 v1, 0
	s_mov_b32 s10, 0
	s_mov_b32 s9, -1
	s_mov_b32 s6, 0x7fffff
	s_mov_b32 s7, 0xb94c1982
	;; [unrolled: 1-line block ×3, first 2 shown]
                                        ; implicit-def: $vgpr30
                                        ; implicit-def: $vgpr31
	s_waitcnt lgkmcnt(0)
	s_and_b32 s33, s2, 0xffff
	s_add_i32 s4, s3, -2
	s_mul_i32 s15, s15, s33
	s_delay_alu instid0(SALU_CYCLE_1) | instskip(NEXT) | instid1(VALU_DEP_1)
	v_lshl_add_u32 v28, s15, 1, v0
	v_cmp_gt_i32_e64 s2, s3, v28
	s_delay_alu instid0(VALU_DEP_1) | instskip(NEXT) | instid1(VALU_DEP_1)
	v_cndmask_b32_e64 v4, s4, v28, s2
	v_ashrrev_i32_e32 v6, 31, v4
.LBB1_1:                                ; =>This Inner Loop Header: Depth=1
	s_mul_i32 s3, s10, s33
                                        ; implicit-def: $vgpr11
                                        ; implicit-def: $vgpr10
	s_delay_alu instid0(SALU_CYCLE_1) | instskip(NEXT) | instid1(VALU_DEP_2)
	v_add_co_u32 v2, vcc_lo, s3, v4
	v_add_co_ci_u32_e32 v3, vcc_lo, 0, v6, vcc_lo
	s_delay_alu instid0(VALU_DEP_1) | instskip(NEXT) | instid1(VALU_DEP_1)
	v_lshlrev_b64 v[2:3], 2, v[2:3]
	v_add_co_u32 v8, vcc_lo, s20, v2
	s_delay_alu instid0(VALU_DEP_2) | instskip(SKIP_4) | instid1(VALU_DEP_2)
	v_add_co_ci_u32_e32 v9, vcc_lo, s21, v3, vcc_lo
	global_load_b32 v8, v[8:9], off
	s_waitcnt vmcnt(0)
	v_and_b32_e32 v9, 0x7fffffff, v8
	v_cmp_ngt_f32_e64 s11, 0x48000000, |v8|
	v_lshrrev_b32_e32 v0, 23, v9
	v_and_or_b32 v13, v9, s6, 0x800000
	s_delay_alu instid0(VALU_DEP_2) | instskip(NEXT) | instid1(VALU_DEP_4)
	v_add_nc_u32_e32 v15, 0xffffff88, v0
	s_and_saveexec_b32 s3, s11
	s_delay_alu instid0(SALU_CYCLE_1)
	s_xor_b32 s12, exec_lo, s3
	s_cbranch_execz .LBB1_3
; %bb.2:                                ;   in Loop: Header=BB1_1 Depth=1
	v_mad_u64_u32 v[10:11], null, 0xfe5163ab, v13, 0
	v_cmp_lt_u32_e32 vcc_lo, 63, v15
	s_delay_alu instid0(VALU_DEP_2) | instskip(NEXT) | instid1(VALU_DEP_1)
	v_mov_b32_e32 v0, v11
	v_mad_u64_u32 v[11:12], null, 0x3c439041, v13, v[0:1]
	s_delay_alu instid0(VALU_DEP_1) | instskip(SKIP_1) | instid1(VALU_DEP_2)
	v_mov_b32_e32 v0, v12
	v_cndmask_b32_e64 v12, 0, 0xffffffc0, vcc_lo
	v_mad_u64_u32 v[16:17], null, 0xdb629599, v13, v[0:1]
	s_delay_alu instid0(VALU_DEP_2) | instskip(NEXT) | instid1(VALU_DEP_1)
	v_add_nc_u32_e32 v12, v12, v15
	v_cmp_lt_u32_e64 s3, 31, v12
	s_delay_alu instid0(VALU_DEP_3) | instskip(NEXT) | instid1(VALU_DEP_4)
	v_mov_b32_e32 v0, v17
	v_cndmask_b32_e32 v10, v16, v10, vcc_lo
	s_delay_alu instid0(VALU_DEP_3) | instskip(NEXT) | instid1(VALU_DEP_3)
	v_cndmask_b32_e64 v14, 0, 0xffffffe0, s3
	v_mad_u64_u32 v[17:18], null, 0xf534ddc0, v13, v[0:1]
	s_delay_alu instid0(VALU_DEP_2) | instskip(NEXT) | instid1(VALU_DEP_2)
	v_add_nc_u32_e32 v12, v14, v12
	v_mov_b32_e32 v0, v18
	s_delay_alu instid0(VALU_DEP_2) | instskip(NEXT) | instid1(VALU_DEP_4)
	v_cmp_lt_u32_e64 s4, 31, v12
	v_cndmask_b32_e32 v11, v17, v11, vcc_lo
	s_delay_alu instid0(VALU_DEP_3) | instskip(NEXT) | instid1(VALU_DEP_2)
	v_mad_u64_u32 v[18:19], null, 0xfc2757d1, v13, v[0:1]
	v_cndmask_b32_e64 v10, v11, v10, s3
	s_delay_alu instid0(VALU_DEP_2) | instskip(NEXT) | instid1(VALU_DEP_1)
	v_mov_b32_e32 v0, v19
	v_mad_u64_u32 v[19:20], null, 0x4e441529, v13, v[0:1]
	s_delay_alu instid0(VALU_DEP_1) | instskip(NEXT) | instid1(VALU_DEP_2)
	v_mov_b32_e32 v0, v20
	v_cndmask_b32_e32 v14, v19, v17, vcc_lo
	s_delay_alu instid0(VALU_DEP_2) | instskip(SKIP_1) | instid1(VALU_DEP_1)
	v_mad_u64_u32 v[20:21], null, 0xa2f9836e, v13, v[0:1]
	v_cndmask_b32_e64 v0, 0, 0xffffffe0, s4
	v_add_nc_u32_e32 v0, v0, v12
	s_delay_alu instid0(VALU_DEP_3) | instskip(SKIP_1) | instid1(VALU_DEP_3)
	v_dual_cndmask_b32 v20, v20, v18 :: v_dual_cndmask_b32 v19, v21, v19
	v_cndmask_b32_e32 v18, v18, v16, vcc_lo
	v_cmp_eq_u32_e64 s5, 0, v0
	s_delay_alu instid0(VALU_DEP_3) | instskip(NEXT) | instid1(VALU_DEP_4)
	v_cndmask_b32_e64 v12, v20, v14, s3
	v_cndmask_b32_e64 v17, v19, v20, s3
	s_delay_alu instid0(VALU_DEP_4) | instskip(SKIP_2) | instid1(VALU_DEP_4)
	v_cndmask_b32_e64 v14, v14, v18, s3
	v_sub_nc_u32_e32 v19, 32, v0
	v_cndmask_b32_e64 v18, v18, v11, s3
	v_cndmask_b32_e64 v17, v17, v12, s4
	s_delay_alu instid0(VALU_DEP_4) | instskip(NEXT) | instid1(VALU_DEP_3)
	v_cndmask_b32_e64 v12, v12, v14, s4
	v_cndmask_b32_e64 v14, v14, v18, s4
	;; [unrolled: 1-line block ×3, first 2 shown]
	s_delay_alu instid0(VALU_DEP_3) | instskip(NEXT) | instid1(VALU_DEP_3)
	v_alignbit_b32 v20, v17, v12, v19
	v_alignbit_b32 v21, v12, v14, v19
	s_delay_alu instid0(VALU_DEP_3) | instskip(NEXT) | instid1(VALU_DEP_3)
	v_alignbit_b32 v19, v14, v10, v19
	v_cndmask_b32_e64 v0, v20, v17, s5
	s_delay_alu instid0(VALU_DEP_3) | instskip(NEXT) | instid1(VALU_DEP_3)
	v_cndmask_b32_e64 v12, v21, v12, s5
	v_cndmask_b32_e64 v14, v19, v14, s5
	s_delay_alu instid0(VALU_DEP_3) | instskip(NEXT) | instid1(VALU_DEP_3)
	v_bfe_u32 v16, v0, 29, 1
	v_alignbit_b32 v11, v0, v12, 30
	s_delay_alu instid0(VALU_DEP_3) | instskip(SKIP_1) | instid1(VALU_DEP_4)
	v_alignbit_b32 v12, v12, v14, 30
	v_alignbit_b32 v10, v14, v10, 30
	v_sub_nc_u32_e32 v17, 0, v16
	s_delay_alu instid0(VALU_DEP_1) | instskip(SKIP_3) | instid1(VALU_DEP_4)
	v_xor_b32_e32 v18, v11, v17
	v_cmp_ne_u32_e32 vcc_lo, v11, v17
	v_xor_b32_e32 v12, v12, v17
	v_xor_b32_e32 v10, v10, v17
	v_clz_i32_u32_e32 v20, v18
	s_delay_alu instid0(VALU_DEP_1) | instskip(NEXT) | instid1(VALU_DEP_1)
	v_add_nc_u32_e32 v19, 1, v20
	v_cndmask_b32_e32 v11, 33, v19, vcc_lo
	s_delay_alu instid0(VALU_DEP_1) | instskip(NEXT) | instid1(VALU_DEP_1)
	v_sub_nc_u32_e32 v14, 32, v11
	v_alignbit_b32 v17, v18, v12, v14
	v_alignbit_b32 v10, v12, v10, v14
	v_lshrrev_b32_e32 v12, 29, v0
	v_lshrrev_b32_e32 v0, 30, v0
	s_delay_alu instid0(VALU_DEP_3) | instskip(NEXT) | instid1(VALU_DEP_3)
	v_alignbit_b32 v14, v17, v10, 9
	v_lshlrev_b32_e32 v12, 31, v12
	v_alignbit_b32 v17, v11, v17, 9
	s_delay_alu instid0(VALU_DEP_3) | instskip(NEXT) | instid1(VALU_DEP_2)
	v_clz_i32_u32_e32 v18, v14
	v_or_b32_e32 v17, v17, v12
	v_or_b32_e32 v12, 0x33800000, v12
	s_delay_alu instid0(VALU_DEP_3) | instskip(NEXT) | instid1(VALU_DEP_3)
	v_min_u32_e32 v18, 32, v18
	v_xor_b32_e32 v17, 1.0, v17
	s_delay_alu instid0(VALU_DEP_2) | instskip(SKIP_1) | instid1(VALU_DEP_3)
	v_sub_nc_u32_e32 v19, 31, v18
	v_add_lshl_u32 v11, v18, v11, 23
	v_mul_f32_e32 v18, 0x3fc90fda, v17
	s_delay_alu instid0(VALU_DEP_3) | instskip(NEXT) | instid1(VALU_DEP_3)
	v_alignbit_b32 v10, v14, v10, v19
	v_sub_nc_u32_e32 v11, v12, v11
	s_delay_alu instid0(VALU_DEP_3) | instskip(NEXT) | instid1(VALU_DEP_3)
	v_fma_f32 v12, 0x3fc90fda, v17, -v18
	v_lshrrev_b32_e32 v10, 9, v10
	s_delay_alu instid0(VALU_DEP_2) | instskip(NEXT) | instid1(VALU_DEP_2)
	v_fmac_f32_e32 v12, 0x33a22168, v17
	v_or_b32_e32 v10, v11, v10
	s_delay_alu instid0(VALU_DEP_1) | instskip(NEXT) | instid1(VALU_DEP_1)
	v_dual_fmac_f32 v12, 0x3fc90fda, v10 :: v_dual_add_nc_u32 v11, v16, v0
	v_add_f32_e32 v10, v18, v12
.LBB1_3:                                ;   in Loop: Header=BB1_1 Depth=1
	s_or_saveexec_b32 s3, s12
	v_mul_f32_e64 v0, 0x3f22f983, |v8|
	s_delay_alu instid0(VALU_DEP_1)
	v_rndne_f32_e32 v0, v0
	s_xor_b32 exec_lo, exec_lo, s3
; %bb.4:                                ;   in Loop: Header=BB1_1 Depth=1
	s_delay_alu instid0(VALU_DEP_1) | instskip(SKIP_1) | instid1(VALU_DEP_2)
	v_fma_f32 v10, 0xbfc90fda, v0, |v8|
	v_cvt_i32_f32_e32 v11, v0
	v_fmac_f32_e32 v10, 0xb3a22168, v0
	s_delay_alu instid0(VALU_DEP_1)
	v_fmac_f32_e32 v10, 0xa7c234c4, v0
; %bb.5:                                ;   in Loop: Header=BB1_1 Depth=1
	s_or_b32 exec_lo, exec_lo, s3
                                        ; implicit-def: $vgpr14
                                        ; implicit-def: $vgpr12
	s_and_saveexec_b32 s3, s11
	s_delay_alu instid0(SALU_CYCLE_1)
	s_xor_b32 s11, exec_lo, s3
	s_cbranch_execz .LBB1_7
; %bb.6:                                ;   in Loop: Header=BB1_1 Depth=1
	v_mad_u64_u32 v[16:17], null, 0xfe5163ab, v13, 0
	v_cmp_lt_u32_e32 vcc_lo, 63, v15
	v_cndmask_b32_e64 v12, 0, 0xffffffc0, vcc_lo
	s_delay_alu instid0(VALU_DEP_3) | instskip(NEXT) | instid1(VALU_DEP_2)
	v_mov_b32_e32 v0, v17
	v_add_nc_u32_e32 v12, v12, v15
	s_delay_alu instid0(VALU_DEP_2) | instskip(NEXT) | instid1(VALU_DEP_2)
	v_mad_u64_u32 v[17:18], null, 0x3c439041, v13, v[0:1]
	v_cmp_lt_u32_e64 s3, 31, v12
	s_delay_alu instid0(VALU_DEP_2) | instskip(NEXT) | instid1(VALU_DEP_1)
	v_mov_b32_e32 v0, v18
	v_mad_u64_u32 v[18:19], null, 0xdb629599, v13, v[0:1]
	s_delay_alu instid0(VALU_DEP_1) | instskip(NEXT) | instid1(VALU_DEP_1)
	v_mov_b32_e32 v0, v19
	v_mad_u64_u32 v[19:20], null, 0xf534ddc0, v13, v[0:1]
	s_delay_alu instid0(VALU_DEP_1) | instskip(NEXT) | instid1(VALU_DEP_1)
	v_mov_b32_e32 v0, v20
	v_mad_u64_u32 v[20:21], null, 0xfc2757d1, v13, v[0:1]
	s_delay_alu instid0(VALU_DEP_1) | instskip(SKIP_1) | instid1(VALU_DEP_2)
	v_mov_b32_e32 v0, v21
	v_cndmask_b32_e64 v21, 0, 0xffffffe0, s3
	v_mad_u64_u32 v[14:15], null, 0x4e441529, v13, v[0:1]
	s_delay_alu instid0(VALU_DEP_2) | instskip(NEXT) | instid1(VALU_DEP_1)
	v_add_nc_u32_e32 v12, v21, v12
	v_cmp_lt_u32_e64 s4, 31, v12
	s_delay_alu instid0(VALU_DEP_3) | instskip(NEXT) | instid1(VALU_DEP_1)
	v_mov_b32_e32 v0, v15
	v_mad_u64_u32 v[21:22], null, 0xa2f9836e, v13, v[0:1]
	s_delay_alu instid0(VALU_DEP_3) | instskip(NEXT) | instid1(VALU_DEP_1)
	v_cndmask_b32_e64 v0, 0, 0xffffffe0, s4
	v_dual_cndmask_b32 v13, v14, v19 :: v_dual_add_nc_u32 v0, v0, v12
	s_delay_alu instid0(VALU_DEP_3) | instskip(SKIP_2) | instid1(VALU_DEP_4)
	v_dual_cndmask_b32 v15, v21, v20 :: v_dual_cndmask_b32 v14, v22, v14
	v_cndmask_b32_e32 v20, v20, v18, vcc_lo
	v_cndmask_b32_e32 v12, v19, v17, vcc_lo
	v_cmp_eq_u32_e64 s5, 0, v0
	s_delay_alu instid0(VALU_DEP_4) | instskip(SKIP_4) | instid1(VALU_DEP_4)
	v_cndmask_b32_e64 v17, v15, v13, s3
	v_cndmask_b32_e64 v14, v14, v15, s3
	;; [unrolled: 1-line block ×3, first 2 shown]
	v_sub_nc_u32_e32 v15, 32, v0
	v_cndmask_b32_e64 v19, v20, v12, s3
	v_cndmask_b32_e64 v14, v14, v17, s4
	s_delay_alu instid0(VALU_DEP_4) | instskip(NEXT) | instid1(VALU_DEP_3)
	v_cndmask_b32_e64 v17, v17, v13, s4
	v_cndmask_b32_e64 v13, v13, v19, s4
	s_delay_alu instid0(VALU_DEP_2) | instskip(NEXT) | instid1(VALU_DEP_2)
	v_alignbit_b32 v20, v14, v17, v15
	v_alignbit_b32 v21, v17, v13, v15
	s_delay_alu instid0(VALU_DEP_2) | instskip(SKIP_1) | instid1(VALU_DEP_3)
	v_cndmask_b32_e64 v0, v20, v14, s5
	v_cndmask_b32_e32 v14, v18, v16, vcc_lo
	v_cndmask_b32_e64 v16, v21, v17, s5
	s_delay_alu instid0(VALU_DEP_3) | instskip(NEXT) | instid1(VALU_DEP_3)
	v_bfe_u32 v17, v0, 29, 1
	v_cndmask_b32_e64 v12, v12, v14, s3
	s_delay_alu instid0(VALU_DEP_3) | instskip(NEXT) | instid1(VALU_DEP_3)
	v_alignbit_b32 v14, v0, v16, 30
	v_sub_nc_u32_e32 v18, 0, v17
	s_delay_alu instid0(VALU_DEP_3) | instskip(NEXT) | instid1(VALU_DEP_2)
	v_cndmask_b32_e64 v12, v19, v12, s4
	v_xor_b32_e32 v19, v14, v18
	s_delay_alu instid0(VALU_DEP_2) | instskip(SKIP_1) | instid1(VALU_DEP_3)
	v_alignbit_b32 v15, v13, v12, v15
	v_cmp_ne_u32_e32 vcc_lo, v14, v18
	v_clz_i32_u32_e32 v20, v19
	s_delay_alu instid0(VALU_DEP_3) | instskip(NEXT) | instid1(VALU_DEP_2)
	v_cndmask_b32_e64 v13, v15, v13, s5
	v_add_nc_u32_e32 v15, 1, v20
	s_delay_alu instid0(VALU_DEP_2) | instskip(SKIP_1) | instid1(VALU_DEP_3)
	v_alignbit_b32 v16, v16, v13, 30
	v_alignbit_b32 v12, v13, v12, 30
	v_cndmask_b32_e32 v14, 33, v15, vcc_lo
	s_delay_alu instid0(VALU_DEP_3) | instskip(NEXT) | instid1(VALU_DEP_3)
	v_xor_b32_e32 v13, v16, v18
	v_xor_b32_e32 v12, v12, v18
	s_delay_alu instid0(VALU_DEP_3) | instskip(NEXT) | instid1(VALU_DEP_1)
	v_sub_nc_u32_e32 v15, 32, v14
	v_alignbit_b32 v16, v19, v13, v15
	s_delay_alu instid0(VALU_DEP_3) | instskip(SKIP_2) | instid1(VALU_DEP_3)
	v_alignbit_b32 v12, v13, v12, v15
	v_lshrrev_b32_e32 v13, 29, v0
	v_lshrrev_b32_e32 v0, 30, v0
	v_alignbit_b32 v15, v16, v12, 9
	s_delay_alu instid0(VALU_DEP_3) | instskip(SKIP_1) | instid1(VALU_DEP_3)
	v_lshlrev_b32_e32 v13, 31, v13
	v_alignbit_b32 v16, v14, v16, 9
	v_clz_i32_u32_e32 v18, v15
	s_delay_alu instid0(VALU_DEP_2) | instskip(SKIP_1) | instid1(VALU_DEP_3)
	v_or_b32_e32 v16, v16, v13
	v_or_b32_e32 v13, 0x33800000, v13
	v_min_u32_e32 v18, 32, v18
	s_delay_alu instid0(VALU_DEP_3) | instskip(NEXT) | instid1(VALU_DEP_2)
	v_xor_b32_e32 v16, 1.0, v16
	v_sub_nc_u32_e32 v19, 31, v18
	v_add_lshl_u32 v14, v18, v14, 23
	s_delay_alu instid0(VALU_DEP_3) | instskip(NEXT) | instid1(VALU_DEP_3)
	v_mul_f32_e32 v18, 0x3fc90fda, v16
	v_alignbit_b32 v12, v15, v12, v19
	s_delay_alu instid0(VALU_DEP_3) | instskip(NEXT) | instid1(VALU_DEP_3)
	v_sub_nc_u32_e32 v13, v13, v14
	v_fma_f32 v14, 0x3fc90fda, v16, -v18
	s_delay_alu instid0(VALU_DEP_3) | instskip(NEXT) | instid1(VALU_DEP_2)
	v_lshrrev_b32_e32 v12, 9, v12
	v_fmac_f32_e32 v14, 0x33a22168, v16
	s_delay_alu instid0(VALU_DEP_2) | instskip(NEXT) | instid1(VALU_DEP_1)
	v_or_b32_e32 v12, v13, v12
	v_fmac_f32_e32 v14, 0x3fc90fda, v12
	s_delay_alu instid0(VALU_DEP_1)
	v_add_f32_e32 v12, v18, v14
	v_add_nc_u32_e32 v14, v17, v0
                                        ; implicit-def: $vgpr0
	s_and_not1_saveexec_b32 s3, s11
	s_cbranch_execnz .LBB1_8
	s_branch .LBB1_9
.LBB1_7:                                ;   in Loop: Header=BB1_1 Depth=1
	s_and_not1_saveexec_b32 s3, s11
.LBB1_8:                                ;   in Loop: Header=BB1_1 Depth=1
	v_fma_f32 v12, 0xbfc90fda, v0, |v8|
	v_cvt_i32_f32_e32 v14, v0
	s_delay_alu instid0(VALU_DEP_2) | instskip(NEXT) | instid1(VALU_DEP_1)
	v_fmac_f32_e32 v12, 0xb3a22168, v0
	v_fmac_f32_e32 v12, 0xa7c234c4, v0
.LBB1_9:                                ;   in Loop: Header=BB1_1 Depth=1
	s_or_b32 exec_lo, exec_lo, s3
	v_add_co_u32 v15, vcc_lo, s22, v2
	v_add_co_ci_u32_e32 v16, vcc_lo, s23, v3, vcc_lo
                                        ; implicit-def: $vgpr17
	global_load_b32 v13, v[15:16], off
                                        ; implicit-def: $vgpr16
	s_waitcnt vmcnt(0)
	v_and_b32_e32 v15, 0x7fffffff, v13
	v_cmp_ngt_f32_e64 s11, 0x48000000, |v13|
	s_delay_alu instid0(VALU_DEP_2) | instskip(SKIP_1) | instid1(VALU_DEP_2)
	v_lshrrev_b32_e32 v0, 23, v15
	v_and_or_b32 v19, v15, s6, 0x800000
	v_add_nc_u32_e32 v21, 0xffffff88, v0
	s_delay_alu instid0(VALU_DEP_4) | instskip(NEXT) | instid1(SALU_CYCLE_1)
	s_and_saveexec_b32 s3, s11
	s_xor_b32 s12, exec_lo, s3
	s_cbranch_execz .LBB1_11
; %bb.10:                               ;   in Loop: Header=BB1_1 Depth=1
	v_mad_u64_u32 v[16:17], null, 0xfe5163ab, v19, 0
	v_cmp_lt_u32_e32 vcc_lo, 63, v21
	s_delay_alu instid0(VALU_DEP_2) | instskip(NEXT) | instid1(VALU_DEP_1)
	v_mov_b32_e32 v0, v17
	v_mad_u64_u32 v[17:18], null, 0x3c439041, v19, v[0:1]
	s_delay_alu instid0(VALU_DEP_1) | instskip(SKIP_1) | instid1(VALU_DEP_2)
	v_mov_b32_e32 v0, v18
	v_cndmask_b32_e64 v18, 0, 0xffffffc0, vcc_lo
	v_mad_u64_u32 v[22:23], null, 0xdb629599, v19, v[0:1]
	s_delay_alu instid0(VALU_DEP_2) | instskip(NEXT) | instid1(VALU_DEP_1)
	v_add_nc_u32_e32 v18, v18, v21
	v_cmp_lt_u32_e64 s3, 31, v18
	s_delay_alu instid0(VALU_DEP_3) | instskip(NEXT) | instid1(VALU_DEP_4)
	v_mov_b32_e32 v0, v23
	v_cndmask_b32_e32 v16, v22, v16, vcc_lo
	s_delay_alu instid0(VALU_DEP_3) | instskip(NEXT) | instid1(VALU_DEP_3)
	v_cndmask_b32_e64 v20, 0, 0xffffffe0, s3
	v_mad_u64_u32 v[23:24], null, 0xf534ddc0, v19, v[0:1]
	s_delay_alu instid0(VALU_DEP_2) | instskip(NEXT) | instid1(VALU_DEP_2)
	v_add_nc_u32_e32 v18, v20, v18
	v_mov_b32_e32 v0, v24
	s_delay_alu instid0(VALU_DEP_2) | instskip(NEXT) | instid1(VALU_DEP_4)
	v_cmp_lt_u32_e64 s4, 31, v18
	v_cndmask_b32_e32 v17, v23, v17, vcc_lo
	s_delay_alu instid0(VALU_DEP_3) | instskip(NEXT) | instid1(VALU_DEP_2)
	v_mad_u64_u32 v[24:25], null, 0xfc2757d1, v19, v[0:1]
	v_cndmask_b32_e64 v16, v17, v16, s3
	s_delay_alu instid0(VALU_DEP_2) | instskip(NEXT) | instid1(VALU_DEP_1)
	v_mov_b32_e32 v0, v25
	v_mad_u64_u32 v[25:26], null, 0x4e441529, v19, v[0:1]
	s_delay_alu instid0(VALU_DEP_1) | instskip(NEXT) | instid1(VALU_DEP_2)
	v_mov_b32_e32 v0, v26
	v_cndmask_b32_e32 v20, v25, v23, vcc_lo
	s_delay_alu instid0(VALU_DEP_2) | instskip(SKIP_1) | instid1(VALU_DEP_1)
	v_mad_u64_u32 v[26:27], null, 0xa2f9836e, v19, v[0:1]
	v_cndmask_b32_e64 v0, 0, 0xffffffe0, s4
	v_add_nc_u32_e32 v0, v0, v18
	s_delay_alu instid0(VALU_DEP_3) | instskip(SKIP_1) | instid1(VALU_DEP_3)
	v_dual_cndmask_b32 v26, v26, v24 :: v_dual_cndmask_b32 v25, v27, v25
	v_cndmask_b32_e32 v24, v24, v22, vcc_lo
	v_cmp_eq_u32_e64 s5, 0, v0
	s_delay_alu instid0(VALU_DEP_3) | instskip(NEXT) | instid1(VALU_DEP_4)
	v_cndmask_b32_e64 v18, v26, v20, s3
	v_cndmask_b32_e64 v23, v25, v26, s3
	s_delay_alu instid0(VALU_DEP_4) | instskip(SKIP_2) | instid1(VALU_DEP_4)
	v_cndmask_b32_e64 v20, v20, v24, s3
	v_sub_nc_u32_e32 v25, 32, v0
	v_cndmask_b32_e64 v24, v24, v17, s3
	v_cndmask_b32_e64 v23, v23, v18, s4
	s_delay_alu instid0(VALU_DEP_4) | instskip(NEXT) | instid1(VALU_DEP_3)
	v_cndmask_b32_e64 v18, v18, v20, s4
	v_cndmask_b32_e64 v20, v20, v24, s4
	v_cndmask_b32_e64 v16, v24, v16, s4
	s_delay_alu instid0(VALU_DEP_3) | instskip(NEXT) | instid1(VALU_DEP_3)
	v_alignbit_b32 v26, v23, v18, v25
	v_alignbit_b32 v27, v18, v20, v25
	s_delay_alu instid0(VALU_DEP_3) | instskip(NEXT) | instid1(VALU_DEP_3)
	v_alignbit_b32 v25, v20, v16, v25
	v_cndmask_b32_e64 v0, v26, v23, s5
	s_delay_alu instid0(VALU_DEP_3) | instskip(NEXT) | instid1(VALU_DEP_3)
	v_cndmask_b32_e64 v18, v27, v18, s5
	v_cndmask_b32_e64 v20, v25, v20, s5
	s_delay_alu instid0(VALU_DEP_3) | instskip(NEXT) | instid1(VALU_DEP_3)
	v_bfe_u32 v22, v0, 29, 1
	v_alignbit_b32 v17, v0, v18, 30
	s_delay_alu instid0(VALU_DEP_3) | instskip(SKIP_1) | instid1(VALU_DEP_4)
	v_alignbit_b32 v18, v18, v20, 30
	v_alignbit_b32 v16, v20, v16, 30
	v_sub_nc_u32_e32 v23, 0, v22
	s_delay_alu instid0(VALU_DEP_1) | instskip(SKIP_3) | instid1(VALU_DEP_4)
	v_xor_b32_e32 v24, v17, v23
	v_cmp_ne_u32_e32 vcc_lo, v17, v23
	v_xor_b32_e32 v18, v18, v23
	v_xor_b32_e32 v16, v16, v23
	v_clz_i32_u32_e32 v26, v24
	s_delay_alu instid0(VALU_DEP_1) | instskip(NEXT) | instid1(VALU_DEP_1)
	v_add_nc_u32_e32 v25, 1, v26
	v_cndmask_b32_e32 v17, 33, v25, vcc_lo
	s_delay_alu instid0(VALU_DEP_1) | instskip(NEXT) | instid1(VALU_DEP_1)
	v_sub_nc_u32_e32 v20, 32, v17
	v_alignbit_b32 v23, v24, v18, v20
	v_alignbit_b32 v16, v18, v16, v20
	v_lshrrev_b32_e32 v18, 29, v0
	v_lshrrev_b32_e32 v0, 30, v0
	s_delay_alu instid0(VALU_DEP_3) | instskip(NEXT) | instid1(VALU_DEP_3)
	v_alignbit_b32 v20, v23, v16, 9
	v_lshlrev_b32_e32 v18, 31, v18
	v_alignbit_b32 v23, v17, v23, 9
	s_delay_alu instid0(VALU_DEP_3) | instskip(NEXT) | instid1(VALU_DEP_2)
	v_clz_i32_u32_e32 v24, v20
	v_or_b32_e32 v23, v23, v18
	v_or_b32_e32 v18, 0x33800000, v18
	s_delay_alu instid0(VALU_DEP_3) | instskip(NEXT) | instid1(VALU_DEP_3)
	v_min_u32_e32 v24, 32, v24
	v_xor_b32_e32 v23, 1.0, v23
	s_delay_alu instid0(VALU_DEP_2) | instskip(SKIP_1) | instid1(VALU_DEP_3)
	v_sub_nc_u32_e32 v25, 31, v24
	v_add_lshl_u32 v17, v24, v17, 23
	v_mul_f32_e32 v24, 0x3fc90fda, v23
	s_delay_alu instid0(VALU_DEP_3) | instskip(NEXT) | instid1(VALU_DEP_3)
	v_alignbit_b32 v16, v20, v16, v25
	v_sub_nc_u32_e32 v17, v18, v17
	s_delay_alu instid0(VALU_DEP_3) | instskip(NEXT) | instid1(VALU_DEP_3)
	v_fma_f32 v18, 0x3fc90fda, v23, -v24
	v_lshrrev_b32_e32 v16, 9, v16
	s_delay_alu instid0(VALU_DEP_2) | instskip(NEXT) | instid1(VALU_DEP_2)
	v_fmac_f32_e32 v18, 0x33a22168, v23
	v_or_b32_e32 v16, v17, v16
	v_add_nc_u32_e32 v17, v22, v0
	s_delay_alu instid0(VALU_DEP_2) | instskip(NEXT) | instid1(VALU_DEP_1)
	v_fmac_f32_e32 v18, 0x3fc90fda, v16
	v_add_f32_e32 v16, v24, v18
.LBB1_11:                               ;   in Loop: Header=BB1_1 Depth=1
	s_or_saveexec_b32 s3, s12
	v_mul_f32_e64 v0, 0x3f22f983, |v13|
	s_delay_alu instid0(VALU_DEP_1)
	v_rndne_f32_e32 v0, v0
	s_xor_b32 exec_lo, exec_lo, s3
; %bb.12:                               ;   in Loop: Header=BB1_1 Depth=1
	s_delay_alu instid0(VALU_DEP_1) | instskip(SKIP_1) | instid1(VALU_DEP_2)
	v_fma_f32 v16, 0xbfc90fda, v0, |v13|
	v_cvt_i32_f32_e32 v17, v0
	v_fmac_f32_e32 v16, 0xb3a22168, v0
	s_delay_alu instid0(VALU_DEP_1)
	v_fmac_f32_e32 v16, 0xa7c234c4, v0
; %bb.13:                               ;   in Loop: Header=BB1_1 Depth=1
	s_or_b32 exec_lo, exec_lo, s3
                                        ; implicit-def: $vgpr20
                                        ; implicit-def: $vgpr18
	s_and_saveexec_b32 s3, s11
	s_delay_alu instid0(SALU_CYCLE_1)
	s_xor_b32 s11, exec_lo, s3
	s_cbranch_execz .LBB1_15
; %bb.14:                               ;   in Loop: Header=BB1_1 Depth=1
	v_mad_u64_u32 v[22:23], null, 0xfe5163ab, v19, 0
	v_cmp_lt_u32_e32 vcc_lo, 63, v21
	v_cndmask_b32_e64 v18, 0, 0xffffffc0, vcc_lo
	s_delay_alu instid0(VALU_DEP_3) | instskip(NEXT) | instid1(VALU_DEP_2)
	v_mov_b32_e32 v0, v23
	v_add_nc_u32_e32 v18, v18, v21
	s_delay_alu instid0(VALU_DEP_2) | instskip(NEXT) | instid1(VALU_DEP_2)
	v_mad_u64_u32 v[23:24], null, 0x3c439041, v19, v[0:1]
	v_cmp_lt_u32_e64 s3, 31, v18
	s_delay_alu instid0(VALU_DEP_2) | instskip(NEXT) | instid1(VALU_DEP_1)
	v_mov_b32_e32 v0, v24
	v_mad_u64_u32 v[24:25], null, 0xdb629599, v19, v[0:1]
	s_delay_alu instid0(VALU_DEP_1) | instskip(NEXT) | instid1(VALU_DEP_1)
	v_mov_b32_e32 v0, v25
	v_mad_u64_u32 v[25:26], null, 0xf534ddc0, v19, v[0:1]
	s_delay_alu instid0(VALU_DEP_1) | instskip(NEXT) | instid1(VALU_DEP_1)
	v_mov_b32_e32 v0, v26
	v_mad_u64_u32 v[26:27], null, 0xfc2757d1, v19, v[0:1]
	s_delay_alu instid0(VALU_DEP_1) | instskip(SKIP_1) | instid1(VALU_DEP_2)
	v_mov_b32_e32 v0, v27
	v_cndmask_b32_e64 v27, 0, 0xffffffe0, s3
	v_mad_u64_u32 v[20:21], null, 0x4e441529, v19, v[0:1]
	s_delay_alu instid0(VALU_DEP_2) | instskip(NEXT) | instid1(VALU_DEP_1)
	v_add_nc_u32_e32 v18, v27, v18
	v_cmp_lt_u32_e64 s4, 31, v18
	s_delay_alu instid0(VALU_DEP_3) | instskip(NEXT) | instid1(VALU_DEP_1)
	v_mov_b32_e32 v0, v21
	v_mad_u64_u32 v[32:33], null, 0xa2f9836e, v19, v[0:1]
	s_delay_alu instid0(VALU_DEP_3) | instskip(SKIP_1) | instid1(VALU_DEP_2)
	v_cndmask_b32_e64 v0, 0, 0xffffffe0, s4
	v_cndmask_b32_e32 v19, v20, v25, vcc_lo
	v_add_nc_u32_e32 v0, v0, v18
	s_delay_alu instid0(VALU_DEP_4) | instskip(SKIP_2) | instid1(VALU_DEP_4)
	v_dual_cndmask_b32 v21, v32, v26 :: v_dual_cndmask_b32 v20, v33, v20
	v_cndmask_b32_e32 v26, v26, v24, vcc_lo
	v_cndmask_b32_e32 v18, v25, v23, vcc_lo
	v_cmp_eq_u32_e64 s5, 0, v0
	s_delay_alu instid0(VALU_DEP_4) | instskip(SKIP_4) | instid1(VALU_DEP_4)
	v_cndmask_b32_e64 v23, v21, v19, s3
	v_cndmask_b32_e64 v20, v20, v21, s3
	;; [unrolled: 1-line block ×3, first 2 shown]
	v_sub_nc_u32_e32 v21, 32, v0
	v_cndmask_b32_e64 v25, v26, v18, s3
	v_cndmask_b32_e64 v20, v20, v23, s4
	s_delay_alu instid0(VALU_DEP_4) | instskip(NEXT) | instid1(VALU_DEP_3)
	v_cndmask_b32_e64 v23, v23, v19, s4
	v_cndmask_b32_e64 v19, v19, v25, s4
	s_delay_alu instid0(VALU_DEP_2) | instskip(NEXT) | instid1(VALU_DEP_2)
	v_alignbit_b32 v26, v20, v23, v21
	v_alignbit_b32 v27, v23, v19, v21
	s_delay_alu instid0(VALU_DEP_2) | instskip(SKIP_1) | instid1(VALU_DEP_3)
	v_cndmask_b32_e64 v0, v26, v20, s5
	v_cndmask_b32_e32 v20, v24, v22, vcc_lo
	v_cndmask_b32_e64 v22, v27, v23, s5
	s_delay_alu instid0(VALU_DEP_3) | instskip(NEXT) | instid1(VALU_DEP_3)
	v_bfe_u32 v23, v0, 29, 1
	v_cndmask_b32_e64 v18, v18, v20, s3
	s_delay_alu instid0(VALU_DEP_3) | instskip(NEXT) | instid1(VALU_DEP_3)
	v_alignbit_b32 v20, v0, v22, 30
	v_sub_nc_u32_e32 v24, 0, v23
	s_delay_alu instid0(VALU_DEP_3) | instskip(NEXT) | instid1(VALU_DEP_2)
	v_cndmask_b32_e64 v18, v25, v18, s4
	v_xor_b32_e32 v25, v20, v24
	s_delay_alu instid0(VALU_DEP_2) | instskip(SKIP_1) | instid1(VALU_DEP_3)
	v_alignbit_b32 v21, v19, v18, v21
	v_cmp_ne_u32_e32 vcc_lo, v20, v24
	v_clz_i32_u32_e32 v26, v25
	s_delay_alu instid0(VALU_DEP_3) | instskip(NEXT) | instid1(VALU_DEP_2)
	v_cndmask_b32_e64 v19, v21, v19, s5
	v_add_nc_u32_e32 v21, 1, v26
	s_delay_alu instid0(VALU_DEP_2) | instskip(SKIP_1) | instid1(VALU_DEP_3)
	v_alignbit_b32 v22, v22, v19, 30
	v_alignbit_b32 v18, v19, v18, 30
	v_cndmask_b32_e32 v20, 33, v21, vcc_lo
	s_delay_alu instid0(VALU_DEP_3) | instskip(NEXT) | instid1(VALU_DEP_3)
	v_xor_b32_e32 v19, v22, v24
	v_xor_b32_e32 v18, v18, v24
	s_delay_alu instid0(VALU_DEP_3) | instskip(NEXT) | instid1(VALU_DEP_1)
	v_sub_nc_u32_e32 v21, 32, v20
	v_alignbit_b32 v22, v25, v19, v21
	s_delay_alu instid0(VALU_DEP_3) | instskip(SKIP_2) | instid1(VALU_DEP_3)
	v_alignbit_b32 v18, v19, v18, v21
	v_lshrrev_b32_e32 v19, 29, v0
	v_lshrrev_b32_e32 v0, 30, v0
	v_alignbit_b32 v21, v22, v18, 9
	s_delay_alu instid0(VALU_DEP_3) | instskip(SKIP_1) | instid1(VALU_DEP_3)
	v_lshlrev_b32_e32 v19, 31, v19
	v_alignbit_b32 v22, v20, v22, 9
	v_clz_i32_u32_e32 v24, v21
	s_delay_alu instid0(VALU_DEP_2) | instskip(SKIP_1) | instid1(VALU_DEP_3)
	v_or_b32_e32 v22, v22, v19
	v_or_b32_e32 v19, 0x33800000, v19
	v_min_u32_e32 v24, 32, v24
	s_delay_alu instid0(VALU_DEP_3) | instskip(NEXT) | instid1(VALU_DEP_2)
	v_xor_b32_e32 v22, 1.0, v22
	v_sub_nc_u32_e32 v25, 31, v24
	v_add_lshl_u32 v20, v24, v20, 23
	s_delay_alu instid0(VALU_DEP_3) | instskip(NEXT) | instid1(VALU_DEP_3)
	v_mul_f32_e32 v24, 0x3fc90fda, v22
	v_alignbit_b32 v18, v21, v18, v25
	s_delay_alu instid0(VALU_DEP_3) | instskip(NEXT) | instid1(VALU_DEP_3)
	v_sub_nc_u32_e32 v19, v19, v20
	v_fma_f32 v20, 0x3fc90fda, v22, -v24
	s_delay_alu instid0(VALU_DEP_3) | instskip(NEXT) | instid1(VALU_DEP_2)
	v_lshrrev_b32_e32 v18, 9, v18
	v_fmac_f32_e32 v20, 0x33a22168, v22
	s_delay_alu instid0(VALU_DEP_2) | instskip(NEXT) | instid1(VALU_DEP_1)
	v_or_b32_e32 v18, v19, v18
	v_fmac_f32_e32 v20, 0x3fc90fda, v18
	s_delay_alu instid0(VALU_DEP_1)
	v_add_f32_e32 v18, v24, v20
	v_add_nc_u32_e32 v20, v23, v0
                                        ; implicit-def: $vgpr0
	s_and_not1_saveexec_b32 s3, s11
	s_cbranch_execnz .LBB1_16
	s_branch .LBB1_17
.LBB1_15:                               ;   in Loop: Header=BB1_1 Depth=1
	s_and_not1_saveexec_b32 s3, s11
.LBB1_16:                               ;   in Loop: Header=BB1_1 Depth=1
	v_fma_f32 v18, 0xbfc90fda, v0, |v13|
	v_cvt_i32_f32_e32 v20, v0
	s_delay_alu instid0(VALU_DEP_2) | instskip(NEXT) | instid1(VALU_DEP_1)
	v_fmac_f32_e32 v18, 0xb3a22168, v0
	v_fmac_f32_e32 v18, 0xa7c234c4, v0
.LBB1_17:                               ;   in Loop: Header=BB1_1 Depth=1
	s_or_b32 exec_lo, exec_lo, s3
	v_add_co_u32 v21, vcc_lo, s24, v2
	v_add_co_ci_u32_e32 v22, vcc_lo, s25, v3, vcc_lo
                                        ; implicit-def: $vgpr23
	global_load_b32 v19, v[21:22], off
                                        ; implicit-def: $vgpr22
	s_waitcnt vmcnt(0)
	v_and_b32_e32 v21, 0x7fffffff, v19
	v_cmp_ngt_f32_e64 s11, 0x48000000, |v19|
	s_delay_alu instid0(VALU_DEP_2) | instskip(SKIP_1) | instid1(VALU_DEP_2)
	v_lshrrev_b32_e32 v0, 23, v21
	v_and_or_b32 v24, v21, s6, 0x800000
	v_add_nc_u32_e32 v25, 0xffffff88, v0
	s_delay_alu instid0(VALU_DEP_4) | instskip(NEXT) | instid1(SALU_CYCLE_1)
	s_and_saveexec_b32 s3, s11
	s_xor_b32 s12, exec_lo, s3
	s_cbranch_execz .LBB1_19
; %bb.18:                               ;   in Loop: Header=BB1_1 Depth=1
	v_mad_u64_u32 v[22:23], null, 0xfe5163ab, v24, 0
	v_cmp_lt_u32_e32 vcc_lo, 63, v25
	s_delay_alu instid0(VALU_DEP_2) | instskip(SKIP_1) | instid1(VALU_DEP_2)
	v_mov_b32_e32 v0, v23
	v_cndmask_b32_e64 v23, 0, 0xffffffc0, vcc_lo
	v_mad_u64_u32 v[26:27], null, 0x3c439041, v24, v[0:1]
	s_delay_alu instid0(VALU_DEP_2) | instskip(NEXT) | instid1(VALU_DEP_1)
	v_add_nc_u32_e32 v23, v23, v25
	v_cmp_lt_u32_e64 s3, 31, v23
	s_delay_alu instid0(VALU_DEP_3) | instskip(NEXT) | instid1(VALU_DEP_2)
	v_mov_b32_e32 v0, v27
	v_cndmask_b32_e64 v27, 0, 0xffffffe0, s3
	s_delay_alu instid0(VALU_DEP_2) | instskip(NEXT) | instid1(VALU_DEP_1)
	v_mad_u64_u32 v[32:33], null, 0xdb629599, v24, v[0:1]
	v_dual_mov_b32 v0, v33 :: v_dual_add_nc_u32 v23, v27, v23
	s_delay_alu instid0(VALU_DEP_2) | instskip(NEXT) | instid1(VALU_DEP_2)
	v_cndmask_b32_e32 v22, v32, v22, vcc_lo
	v_cmp_lt_u32_e64 s4, 31, v23
	s_delay_alu instid0(VALU_DEP_3) | instskip(NEXT) | instid1(VALU_DEP_1)
	v_mad_u64_u32 v[33:34], null, 0xf534ddc0, v24, v[0:1]
	v_mov_b32_e32 v0, v34
	s_delay_alu instid0(VALU_DEP_1) | instskip(NEXT) | instid1(VALU_DEP_1)
	v_mad_u64_u32 v[34:35], null, 0xfc2757d1, v24, v[0:1]
	v_mov_b32_e32 v0, v35
	s_delay_alu instid0(VALU_DEP_1) | instskip(NEXT) | instid1(VALU_DEP_1)
	v_mad_u64_u32 v[35:36], null, 0x4e441529, v24, v[0:1]
	v_dual_mov_b32 v0, v36 :: v_dual_cndmask_b32 v27, v35, v33
	s_delay_alu instid0(VALU_DEP_1) | instskip(SKIP_1) | instid1(VALU_DEP_1)
	v_mad_u64_u32 v[36:37], null, 0xa2f9836e, v24, v[0:1]
	v_cndmask_b32_e64 v0, 0, 0xffffffe0, s4
	v_add_nc_u32_e32 v0, v0, v23
	s_delay_alu instid0(VALU_DEP_3) | instskip(NEXT) | instid1(VALU_DEP_4)
	v_cndmask_b32_e32 v29, v36, v34, vcc_lo
	v_dual_cndmask_b32 v35, v37, v35 :: v_dual_cndmask_b32 v34, v34, v32
	v_cndmask_b32_e32 v23, v33, v26, vcc_lo
	s_delay_alu instid0(VALU_DEP_4) | instskip(NEXT) | instid1(VALU_DEP_4)
	v_sub_nc_u32_e32 v33, 32, v0
	v_cndmask_b32_e64 v26, v29, v27, s3
	s_delay_alu instid0(VALU_DEP_4)
	v_cndmask_b32_e64 v29, v35, v29, s3
	v_cndmask_b32_e64 v27, v27, v34, s3
	v_cndmask_b32_e64 v34, v34, v23, s3
	v_cmp_eq_u32_e64 s5, 0, v0
	v_cndmask_b32_e64 v22, v23, v22, s3
	v_cndmask_b32_e64 v29, v29, v26, s4
	;; [unrolled: 1-line block ×4, first 2 shown]
	s_delay_alu instid0(VALU_DEP_4) | instskip(NEXT) | instid1(VALU_DEP_3)
	v_cndmask_b32_e64 v22, v34, v22, s4
	v_alignbit_b32 v35, v29, v26, v33
	s_delay_alu instid0(VALU_DEP_3) | instskip(NEXT) | instid1(VALU_DEP_3)
	v_alignbit_b32 v36, v26, v27, v33
	v_alignbit_b32 v33, v27, v22, v33
	s_delay_alu instid0(VALU_DEP_3) | instskip(NEXT) | instid1(VALU_DEP_3)
	v_cndmask_b32_e64 v0, v35, v29, s5
	v_cndmask_b32_e64 v26, v36, v26, s5
	s_delay_alu instid0(VALU_DEP_3) | instskip(NEXT) | instid1(VALU_DEP_3)
	v_cndmask_b32_e64 v27, v33, v27, s5
	v_bfe_u32 v29, v0, 29, 1
	s_delay_alu instid0(VALU_DEP_3) | instskip(NEXT) | instid1(VALU_DEP_3)
	v_alignbit_b32 v23, v0, v26, 30
	v_alignbit_b32 v26, v26, v27, 30
	;; [unrolled: 1-line block ×3, first 2 shown]
	s_delay_alu instid0(VALU_DEP_4) | instskip(NEXT) | instid1(VALU_DEP_1)
	v_sub_nc_u32_e32 v32, 0, v29
	v_xor_b32_e32 v34, v23, v32
	v_cmp_ne_u32_e32 vcc_lo, v23, v32
	v_xor_b32_e32 v26, v26, v32
	v_xor_b32_e32 v22, v22, v32
	s_delay_alu instid0(VALU_DEP_4) | instskip(NEXT) | instid1(VALU_DEP_1)
	v_clz_i32_u32_e32 v35, v34
	v_add_nc_u32_e32 v33, 1, v35
	s_delay_alu instid0(VALU_DEP_1) | instskip(NEXT) | instid1(VALU_DEP_1)
	v_cndmask_b32_e32 v23, 33, v33, vcc_lo
	v_sub_nc_u32_e32 v27, 32, v23
	s_delay_alu instid0(VALU_DEP_1) | instskip(SKIP_3) | instid1(VALU_DEP_3)
	v_alignbit_b32 v32, v34, v26, v27
	v_alignbit_b32 v22, v26, v22, v27
	v_lshrrev_b32_e32 v26, 29, v0
	v_lshrrev_b32_e32 v0, 30, v0
	v_alignbit_b32 v27, v32, v22, 9
	s_delay_alu instid0(VALU_DEP_3) | instskip(SKIP_1) | instid1(VALU_DEP_3)
	v_lshlrev_b32_e32 v26, 31, v26
	v_alignbit_b32 v32, v23, v32, 9
	v_clz_i32_u32_e32 v33, v27
	s_delay_alu instid0(VALU_DEP_2) | instskip(SKIP_1) | instid1(VALU_DEP_3)
	v_or_b32_e32 v32, v32, v26
	v_or_b32_e32 v26, 0x33800000, v26
	v_min_u32_e32 v33, 32, v33
	s_delay_alu instid0(VALU_DEP_3) | instskip(NEXT) | instid1(VALU_DEP_2)
	v_xor_b32_e32 v32, 1.0, v32
	v_sub_nc_u32_e32 v34, 31, v33
	v_add_lshl_u32 v23, v33, v23, 23
	s_delay_alu instid0(VALU_DEP_3) | instskip(NEXT) | instid1(VALU_DEP_3)
	v_mul_f32_e32 v33, 0x3fc90fda, v32
	v_alignbit_b32 v22, v27, v22, v34
	s_delay_alu instid0(VALU_DEP_3) | instskip(NEXT) | instid1(VALU_DEP_3)
	v_sub_nc_u32_e32 v23, v26, v23
	v_fma_f32 v26, 0x3fc90fda, v32, -v33
	s_delay_alu instid0(VALU_DEP_3) | instskip(NEXT) | instid1(VALU_DEP_2)
	v_lshrrev_b32_e32 v22, 9, v22
	v_fmac_f32_e32 v26, 0x33a22168, v32
	s_delay_alu instid0(VALU_DEP_2) | instskip(NEXT) | instid1(VALU_DEP_1)
	v_or_b32_e32 v22, v23, v22
	v_dual_fmac_f32 v26, 0x3fc90fda, v22 :: v_dual_add_nc_u32 v23, v29, v0
	s_delay_alu instid0(VALU_DEP_1)
	v_add_f32_e32 v22, v33, v26
.LBB1_19:                               ;   in Loop: Header=BB1_1 Depth=1
	s_or_saveexec_b32 s3, s12
	v_mul_f32_e64 v0, 0x3f22f983, |v19|
	s_delay_alu instid0(VALU_DEP_1)
	v_rndne_f32_e32 v27, v0
	s_xor_b32 exec_lo, exec_lo, s3
; %bb.20:                               ;   in Loop: Header=BB1_1 Depth=1
	s_delay_alu instid0(VALU_DEP_1) | instskip(SKIP_1) | instid1(VALU_DEP_2)
	v_fma_f32 v22, 0xbfc90fda, v27, |v19|
	v_cvt_i32_f32_e32 v23, v27
	v_fmac_f32_e32 v22, 0xb3a22168, v27
	s_delay_alu instid0(VALU_DEP_1)
	v_fmac_f32_e32 v22, 0xa7c234c4, v27
; %bb.21:                               ;   in Loop: Header=BB1_1 Depth=1
	s_or_b32 exec_lo, exec_lo, s3
                                        ; implicit-def: $vgpr26
                                        ; implicit-def: $vgpr0
	s_and_saveexec_b32 s3, s11
	s_delay_alu instid0(SALU_CYCLE_1)
	s_xor_b32 s11, exec_lo, s3
	s_cbranch_execz .LBB1_23
; %bb.22:                               ;   in Loop: Header=BB1_1 Depth=1
	v_mad_u64_u32 v[26:27], null, 0xfe5163ab, v24, 0
	v_cmp_lt_u32_e32 vcc_lo, 63, v25
	s_delay_alu instid0(VALU_DEP_2) | instskip(SKIP_1) | instid1(VALU_DEP_2)
	v_mov_b32_e32 v0, v27
	v_cndmask_b32_e64 v27, 0, 0xffffffc0, vcc_lo
	v_mad_u64_u32 v[32:33], null, 0x3c439041, v24, v[0:1]
	s_delay_alu instid0(VALU_DEP_2) | instskip(NEXT) | instid1(VALU_DEP_1)
	v_add_nc_u32_e32 v25, v27, v25
	v_cmp_lt_u32_e64 s3, 31, v25
	s_delay_alu instid0(VALU_DEP_3) | instskip(NEXT) | instid1(VALU_DEP_2)
	v_mov_b32_e32 v0, v33
	v_cndmask_b32_e64 v27, 0, 0xffffffe0, s3
	s_delay_alu instid0(VALU_DEP_2) | instskip(NEXT) | instid1(VALU_DEP_1)
	v_mad_u64_u32 v[33:34], null, 0xdb629599, v24, v[0:1]
	v_dual_mov_b32 v0, v34 :: v_dual_add_nc_u32 v25, v27, v25
	s_delay_alu instid0(VALU_DEP_2) | instskip(NEXT) | instid1(VALU_DEP_2)
	v_cndmask_b32_e32 v26, v33, v26, vcc_lo
	v_cmp_lt_u32_e64 s4, 31, v25
	s_delay_alu instid0(VALU_DEP_3) | instskip(NEXT) | instid1(VALU_DEP_1)
	v_mad_u64_u32 v[34:35], null, 0xf534ddc0, v24, v[0:1]
	v_mov_b32_e32 v0, v35
	s_delay_alu instid0(VALU_DEP_1) | instskip(NEXT) | instid1(VALU_DEP_1)
	v_mad_u64_u32 v[35:36], null, 0xfc2757d1, v24, v[0:1]
	v_mov_b32_e32 v0, v36
	s_delay_alu instid0(VALU_DEP_1) | instskip(NEXT) | instid1(VALU_DEP_1)
	v_mad_u64_u32 v[36:37], null, 0x4e441529, v24, v[0:1]
	v_mov_b32_e32 v0, v37
	s_delay_alu instid0(VALU_DEP_1) | instskip(SKIP_1) | instid1(VALU_DEP_4)
	v_mad_u64_u32 v[37:38], null, 0xa2f9836e, v24, v[0:1]
	v_cndmask_b32_e64 v0, 0, 0xffffffe0, s4
	v_cndmask_b32_e32 v24, v36, v34, vcc_lo
	s_delay_alu instid0(VALU_DEP_2) | instskip(NEXT) | instid1(VALU_DEP_4)
	v_dual_cndmask_b32 v27, v37, v35 :: v_dual_add_nc_u32 v0, v0, v25
	v_cndmask_b32_e32 v29, v38, v36, vcc_lo
	v_cndmask_b32_e32 v35, v35, v33, vcc_lo
	;; [unrolled: 1-line block ×3, first 2 shown]
	s_delay_alu instid0(VALU_DEP_4)
	v_cmp_eq_u32_e64 s5, 0, v0
	v_cndmask_b32_e64 v32, v27, v24, s3
	v_cndmask_b32_e64 v27, v29, v27, s3
	;; [unrolled: 1-line block ×3, first 2 shown]
	v_sub_nc_u32_e32 v29, 32, v0
	v_cndmask_b32_e64 v34, v35, v25, s3
	v_cndmask_b32_e64 v25, v25, v26, s3
	;; [unrolled: 1-line block ×4, first 2 shown]
	s_delay_alu instid0(VALU_DEP_4) | instskip(NEXT) | instid1(VALU_DEP_4)
	v_cndmask_b32_e64 v24, v24, v34, s4
	v_cndmask_b32_e64 v25, v34, v25, s4
	s_delay_alu instid0(VALU_DEP_3) | instskip(NEXT) | instid1(VALU_DEP_3)
	v_alignbit_b32 v35, v27, v32, v29
	v_alignbit_b32 v36, v32, v24, v29
	s_delay_alu instid0(VALU_DEP_3) | instskip(NEXT) | instid1(VALU_DEP_3)
	v_alignbit_b32 v29, v24, v25, v29
	v_cndmask_b32_e64 v0, v35, v27, s5
	s_delay_alu instid0(VALU_DEP_3) | instskip(NEXT) | instid1(VALU_DEP_3)
	v_cndmask_b32_e64 v27, v36, v32, s5
	v_cndmask_b32_e64 v24, v29, v24, s5
	s_delay_alu instid0(VALU_DEP_3) | instskip(NEXT) | instid1(VALU_DEP_3)
	v_bfe_u32 v32, v0, 29, 1
	v_alignbit_b32 v26, v0, v27, 30
	s_delay_alu instid0(VALU_DEP_3) | instskip(SKIP_1) | instid1(VALU_DEP_4)
	v_alignbit_b32 v27, v27, v24, 30
	v_alignbit_b32 v24, v24, v25, 30
	v_sub_nc_u32_e32 v33, 0, v32
	s_delay_alu instid0(VALU_DEP_1) | instskip(SKIP_3) | instid1(VALU_DEP_4)
	v_xor_b32_e32 v34, v26, v33
	v_cmp_ne_u32_e32 vcc_lo, v26, v33
	v_xor_b32_e32 v25, v27, v33
	v_xor_b32_e32 v24, v24, v33
	v_clz_i32_u32_e32 v35, v34
	s_delay_alu instid0(VALU_DEP_1) | instskip(NEXT) | instid1(VALU_DEP_1)
	v_add_nc_u32_e32 v29, 1, v35
	v_cndmask_b32_e32 v26, 33, v29, vcc_lo
	s_delay_alu instid0(VALU_DEP_1) | instskip(NEXT) | instid1(VALU_DEP_1)
	v_sub_nc_u32_e32 v27, 32, v26
	v_alignbit_b32 v29, v34, v25, v27
	v_alignbit_b32 v24, v25, v24, v27
	v_lshrrev_b32_e32 v25, 29, v0
	s_delay_alu instid0(VALU_DEP_2) | instskip(NEXT) | instid1(VALU_DEP_2)
	v_alignbit_b32 v27, v29, v24, 9
	v_lshlrev_b32_e32 v25, 31, v25
	v_alignbit_b32 v29, v26, v29, 9
	s_delay_alu instid0(VALU_DEP_3) | instskip(NEXT) | instid1(VALU_DEP_2)
	v_clz_i32_u32_e32 v33, v27
	v_or_b32_e32 v29, v29, v25
	v_or_b32_e32 v25, 0x33800000, v25
	s_delay_alu instid0(VALU_DEP_3) | instskip(NEXT) | instid1(VALU_DEP_3)
	v_min_u32_e32 v33, 32, v33
	v_xor_b32_e32 v29, 1.0, v29
	s_delay_alu instid0(VALU_DEP_2) | instskip(SKIP_1) | instid1(VALU_DEP_2)
	v_sub_nc_u32_e32 v34, 31, v33
	v_add_lshl_u32 v26, v33, v26, 23
	v_alignbit_b32 v24, v27, v24, v34
	s_delay_alu instid0(VALU_DEP_2) | instskip(NEXT) | instid1(VALU_DEP_2)
	v_sub_nc_u32_e32 v25, v25, v26
                                        ; implicit-def: $vgpr27
	v_lshrrev_b32_e32 v24, 9, v24
	s_delay_alu instid0(VALU_DEP_1) | instskip(SKIP_1) | instid1(VALU_DEP_1)
	v_or_b32_e32 v24, v25, v24
	v_mul_f32_e32 v33, 0x3fc90fda, v29
	v_fma_f32 v26, 0x3fc90fda, v29, -v33
	s_delay_alu instid0(VALU_DEP_1) | instskip(NEXT) | instid1(VALU_DEP_1)
	v_fmac_f32_e32 v26, 0x33a22168, v29
	v_fmac_f32_e32 v26, 0x3fc90fda, v24
	v_lshrrev_b32_e32 v24, 30, v0
	s_delay_alu instid0(VALU_DEP_2) | instskip(NEXT) | instid1(VALU_DEP_2)
	v_add_f32_e32 v0, v33, v26
	v_add_nc_u32_e32 v26, v32, v24
	s_and_not1_saveexec_b32 s3, s11
	s_cbranch_execnz .LBB1_24
	s_branch .LBB1_25
.LBB1_23:                               ;   in Loop: Header=BB1_1 Depth=1
	s_and_not1_saveexec_b32 s3, s11
.LBB1_24:                               ;   in Loop: Header=BB1_1 Depth=1
	v_fma_f32 v0, 0xbfc90fda, v27, |v19|
	v_cvt_i32_f32_e32 v26, v27
	s_delay_alu instid0(VALU_DEP_2) | instskip(NEXT) | instid1(VALU_DEP_1)
	v_fmac_f32_e32 v0, 0xb3a22168, v27
	v_fmac_f32_e32 v0, 0xa7c234c4, v27
.LBB1_25:                               ;   in Loop: Header=BB1_1 Depth=1
	s_or_b32 exec_lo, exec_lo, s3
	v_add_co_u32 v24, vcc_lo, s26, v2
	v_add_co_ci_u32_e32 v25, vcc_lo, s27, v3, vcc_lo
	v_add_co_u32 v32, vcc_lo, s28, v2
	v_add_co_ci_u32_e32 v33, vcc_lo, s29, v3, vcc_lo
	;; [unrolled: 2-line block ×3, first 2 shown]
	global_load_b32 v24, v[24:25], off
	global_load_b32 v35, v[32:33], off
	;; [unrolled: 1-line block ×3, first 2 shown]
	v_mul_f32_e32 v25, v18, v18
	v_dual_mul_f32 v2, v22, v22 :: v_dual_and_b32 v3, 1, v23
	v_and_b32_e32 v27, 1, v20
	v_lshlrev_b32_e32 v20, 30, v20
	v_dual_mul_f32 v33, v12, v12 :: v_dual_and_b32 v34, 1, v14
	v_dual_fmaak_f32 v43, s7, v25, 0x3c0881c4 :: v_dual_lshlrev_b32 v14, 30, v14
	v_cmp_eq_u32_e32 vcc_lo, 0, v3
	v_dual_fmaak_f32 v42, s8, v2, 0xbab64f3b :: v_dual_lshlrev_b32 v23, 30, v23
	s_delay_alu instid0(VALU_DEP_3) | instskip(SKIP_1) | instid1(VALU_DEP_3)
	v_dual_mul_f32 v36, v10, v10 :: v_dual_fmaak_f32 v43, v25, v43, 0xbe2aaa9d
	v_fmaak_f32 v48, s8, v33, 0xbab64f3b
	v_fmaak_f32 v42, v2, v42, 0x3d2aabf7
	v_xor_b32_e32 v21, v21, v19
	v_dual_mul_f32 v29, v16, v16 :: v_dual_and_b32 v32, 1, v17
	v_mul_f32_e32 v43, v25, v43
	v_fmaak_f32 v41, s7, v2, 0x3c0881c4
	v_dual_fmaak_f32 v42, v2, v42, 0xbf000004 :: v_dual_and_b32 v37, 1, v11
	v_fmaak_f32 v44, s8, v25, 0xbab64f3b
	s_delay_alu instid0(VALU_DEP_4) | instskip(NEXT) | instid1(VALU_DEP_4)
	v_fmac_f32_e32 v18, v18, v43
	v_fmaak_f32 v41, v2, v41, 0xbe2aaa9d
	v_and_b32_e32 v20, 0x80000000, v20
	v_dual_fmaak_f32 v46, s8, v29, 0xbab64f3b :: v_dual_lshlrev_b32 v11, 30, v11
	v_dual_fmaak_f32 v45, s7, v29, 0x3c0881c4 :: v_dual_and_b32 v40, 1, v26
	s_delay_alu instid0(VALU_DEP_4)
	v_mul_f32_e32 v41, v2, v41
	v_and_b32_e32 v23, 0x80000000, v23
	v_fma_f32 v2, v2, v42, 1.0
	v_fmaak_f32 v44, v25, v44, 0x3d2aabf7
	v_cmp_class_f32_e64 s4, v19, 0x1f8
	v_fmac_f32_e32 v22, v22, v41
	v_dual_fmaak_f32 v47, s7, v33, 0x3c0881c4 :: v_dual_lshlrev_b32 v26, 30, v26
	v_fmaak_f32 v45, v29, v45, 0xbe2aaa9d
	v_fmaak_f32 v46, v29, v46, 0x3d2aabf7
	s_delay_alu instid0(VALU_DEP_4)
	v_cndmask_b32_e32 v2, v2, v22, vcc_lo
	v_and_b32_e32 v14, 0x80000000, v14
	v_fmaak_f32 v47, v33, v47, 0xbe2aaa9d
	v_fmaak_f32 v50, s8, v36, 0xbab64f3b
	;; [unrolled: 1-line block ×3, first 2 shown]
	v_xor3_b32 v2, v21, v23, v2
	v_mul_f32_e32 v45, v29, v45
	v_fmaak_f32 v49, s7, v36, 0x3c0881c4
	v_fmaak_f32 v46, v29, v46, 0xbf000004
	v_cmp_eq_u32_e32 vcc_lo, 0, v27
	v_cndmask_b32_e64 v2, 0x7fc00000, v2, s4
	v_dual_fmaak_f32 v44, v25, v44, 0xbf000004 :: v_dual_lshlrev_b32 v17, 30, v17
	v_dual_mul_f32 v38, v0, v0 :: v_dual_mul_f32 v47, v33, v47
	v_fmaak_f32 v50, v36, v50, 0x3d2aabf7
	s_delay_alu instid0(VALU_DEP_3)
	v_fma_f32 v25, v25, v44, 1.0
	v_fmaak_f32 v48, v33, v48, 0xbf000004
	v_fmac_f32_e32 v16, v16, v45
	v_fma_f32 v29, v29, v46, 1.0
	v_dual_fmac_f32 v12, v12, v47 :: v_dual_and_b32 v17, 0x80000000, v17
	v_cndmask_b32_e64 v3, -v18, v25, vcc_lo
	v_cmp_eq_u32_e32 vcc_lo, 0, v32
	v_fmaak_f32 v49, v36, v49, 0xbe2aaa9d
	v_fmaak_f32 v50, v36, v50, 0xbf000004
	v_fma_f32 v33, v33, v48, 1.0
	v_xor_b32_e32 v9, v9, v8
	v_cndmask_b32_e32 v16, v29, v16, vcc_lo
	v_dual_fmaak_f32 v52, s8, v38, 0xbab64f3b :: v_dual_mul_f32 v49, v36, v49
	v_cmp_eq_u32_e32 vcc_lo, 0, v34
	v_and_b32_e32 v11, 0x80000000, v11
	v_fma_f32 v36, v36, v50, 1.0
	v_cmp_class_f32_e64 s3, v8, 0x1f8
	v_fmac_f32_e32 v10, v10, v49
	v_cndmask_b32_e64 v12, -v12, v33, vcc_lo
	v_cmp_eq_u32_e32 vcc_lo, 0, v37
	v_fmaak_f32 v52, v38, v52, 0x3d2aabf7
	v_xor_b32_e32 v15, v15, v13
	v_xor_b32_e32 v3, v20, v3
	;; [unrolled: 1-line block ×3, first 2 shown]
	v_cndmask_b32_e32 v10, v36, v10, vcc_lo
	v_fmaak_f32 v52, v38, v52, 0xbf000004
	v_cmp_eq_u32_e32 vcc_lo, 0, v40
	s_xor_b32 s5, s9, -1
	s_cmp_lg_u32 s10, 0
	v_xor3_b32 v8, v9, v11, v10
	v_cndmask_b32_e64 v10, 0x7fc00000, v12, s3
	s_mov_b32 s9, 0
	s_delay_alu instid0(VALU_DEP_2) | instskip(SKIP_1) | instid1(VALU_DEP_3)
	v_cndmask_b32_e64 v8, 0x7fc00000, v8, s3
	v_fmaak_f32 v51, s7, v38, 0x3c0881c4
	v_mul_f32_e32 v12, v10, v2
	s_delay_alu instid0(VALU_DEP_2) | instskip(NEXT) | instid1(VALU_DEP_1)
	v_fmaak_f32 v51, v38, v51, 0xbe2aaa9d
	v_dual_mul_f32 v51, v38, v51 :: v_dual_and_b32 v26, 0x80000000, v26
	v_fma_f32 v38, v38, v52, 1.0
	s_delay_alu instid0(VALU_DEP_2) | instskip(NEXT) | instid1(VALU_DEP_1)
	v_fmac_f32_e32 v0, v0, v51
	v_cndmask_b32_e64 v0, -v0, v38, vcc_lo
	v_cmp_class_f32_e64 vcc_lo, v13, 0x1f8
	v_xor3_b32 v13, v15, v17, v16
	s_delay_alu instid0(VALU_DEP_3) | instskip(SKIP_1) | instid1(VALU_DEP_3)
	v_xor_b32_e32 v0, v26, v0
	v_cndmask_b32_e32 v3, 0x7fc00000, v3, vcc_lo
	v_cndmask_b32_e32 v9, 0x7fc00000, v13, vcc_lo
	s_cselect_b32 vcc_lo, -1, 0
	s_cmp_lg_u32 s10, 1
	v_cndmask_b32_e64 v0, 0x7fc00000, v0, s4
	v_mul_f32_e32 v38, v10, v3
	v_mul_f32_e32 v13, v10, v9
	v_dual_mul_f32 v11, v8, v9 :: v_dual_cndmask_b32 v30, 0, v30
	s_delay_alu instid0(VALU_DEP_4) | instskip(SKIP_1) | instid1(VALU_DEP_4)
	v_mul_f32_e32 v33, v10, v0
	v_mul_f32_e32 v14, v8, v0
	;; [unrolled: 1-line block ×3, first 2 shown]
	s_cselect_b32 vcc_lo, -1, 0
	v_mul_f32_e32 v21, v3, v0
	v_fma_f32 v22, v11, v0, -v12
	v_cndmask_b32_e32 v31, 0, v31, vcc_lo
	v_fmac_f32_e32 v23, v8, v2
	v_mul_f32_e32 v32, v3, v2
	v_fmac_f32_e32 v33, v11, v2
	v_fma_f32 v34, v13, v2, -v14
	v_xor_b32_e32 v36, 0x80000000, v9
	v_mul_f32_e32 v37, v8, v3
	s_and_not1_b32 vcc_lo, exec_lo, s5
	s_waitcnt vmcnt(2)
	scratch_store_b128 v7, v[21:24], off
	s_waitcnt vmcnt(1)
	scratch_store_b128 v7, v[32:35], off offset:16
	s_waitcnt vmcnt(0)
	scratch_store_b128 v7, v[36:39], off offset:32
	s_cbranch_vccz .LBB1_27
; %bb.26:                               ;   in Loop: Header=BB1_1 Depth=1
	v_mov_b32_e32 v7, v5
	s_mov_b32 s10, 1
	s_branch .LBB1_1
.LBB1_27:
	s_clause 0x5
	scratch_load_b128 v[0:3], off, off
	scratch_load_b128 v[4:7], off, off offset:16
	scratch_load_b128 v[8:11], off, off offset:32
	;; [unrolled: 1-line block ×5, first 2 shown]
	s_clause 0x1
	s_load_b64 s[4:5], s[0:1], 0x0
	s_load_b128 s[12:15], s[0:1], 0x48
	v_mov_b32_e32 v29, 0
	s_mov_b32 s21, 0
	s_delay_alu instid0(SALU_CYCLE_1)
	s_mov_b32 s20, s21
	s_waitcnt lgkmcnt(0)
	s_max_i32 s24, s5, 1
	s_max_i32 s25, s4, 1
	s_add_u32 s16, s16, 8
	s_addc_u32 s17, s17, 0
.LBB1_28:                               ; =>This Loop Header: Depth=1
                                        ;     Child Loop BB1_29 Depth 2
	s_lshl_b64 s[0:1], s[20:21], 4
	s_mov_b32 s26, s24
	s_add_u32 s0, s18, s0
	s_addc_u32 s1, s19, s1
	s_mov_b64 s[22:23], s[16:17]
	global_load_b128 v[37:40], v29, s[0:1]
	s_waitcnt vmcnt(0)
	v_ashrrev_i32_e32 v25, 31, v40
	v_fma_f32 v33, v37, v4, v7
	v_mov_b32_e32 v24, v40
	v_fma_f32 v32, v37, v0, v3
	v_fma_f32 v34, v37, v8, v11
	;; [unrolled: 1-line block ×3, first 2 shown]
	v_fmac_f32_e32 v33, v38, v5
	v_lshlrev_b64 v[24:25], 4, v[24:25]
	v_fmac_f32_e32 v32, v38, v1
	v_fma_f32 v36, v37, v16, v19
	v_fma_f32 v37, v37, v20, v23
	v_fmac_f32_e32 v33, v39, v6
	v_fmac_f32_e32 v35, v38, v13
	v_add_co_u32 v24, vcc_lo, s14, v24
	v_add_co_ci_u32_e32 v25, vcc_lo, s15, v25, vcc_lo
	v_fmac_f32_e32 v32, v39, v2
	s_delay_alu instid0(VALU_DEP_4) | instskip(SKIP_2) | instid1(VALU_DEP_1)
	v_dual_fmac_f32 v34, v38, v9 :: v_dual_fmac_f32 v35, v39, v14
	global_load_b128 v[24:27], v[24:25], off
	v_dual_fmac_f32 v37, v38, v21 :: v_dual_fmac_f32 v34, v39, v10
	v_dual_fmac_f32 v36, v38, v17 :: v_dual_fmac_f32 v37, v39, v22
	s_delay_alu instid0(VALU_DEP_1)
	v_fmac_f32_e32 v36, v39, v18
	s_waitcnt vmcnt(0)
	v_cmp_gt_f32_e64 s0, 0, v26
	v_cmp_lt_f32_e64 s1, 0, v26
	v_cmp_eq_u32_e64 s3, 0x46, v24
	v_cmp_eq_u32_e64 s4, 0x45, v24
	s_delay_alu instid0(VALU_DEP_4)
	v_cndmask_b32_e64 v24, 1.0, 0x40b00000, s0
	v_cndmask_b32_e64 v38, 0xff7fffff, 1.0, s0
.LBB1_29:                               ;   Parent Loop BB1_28 Depth=1
                                        ; =>  This Inner Loop Header: Depth=2
	global_load_b128 v[39:42], v29, s[22:23] offset:-8
	s_waitcnt vmcnt(0)
	v_ashrrev_i32_e32 v43, 31, v42
	v_dual_sub_f32 v46, v32, v39 :: v_dual_sub_f32 v47, v33, v40
	v_sub_f32_e32 v40, v36, v40
	v_dual_sub_f32 v48, v34, v41 :: v_dual_sub_f32 v39, v35, v39
	s_delay_alu instid0(VALU_DEP_4) | instskip(SKIP_1) | instid1(VALU_DEP_4)
	v_lshlrev_b64 v[42:43], 4, v[42:43]
	v_sub_f32_e32 v41, v37, v41
	v_dual_mul_f32 v47, v47, v47 :: v_dual_mul_f32 v40, v40, v40
	s_delay_alu instid0(VALU_DEP_3) | instskip(NEXT) | instid1(VALU_DEP_4)
	v_add_co_u32 v42, vcc_lo, s14, v42
	v_add_co_ci_u32_e32 v43, vcc_lo, s15, v43, vcc_lo
	s_delay_alu instid0(VALU_DEP_3) | instskip(SKIP_2) | instid1(VALU_DEP_1)
	v_dual_fmac_f32 v47, v46, v46 :: v_dual_fmac_f32 v40, v39, v39
	global_load_b128 v[42:45], v[42:43], off
	v_dual_fmac_f32 v47, v48, v48 :: v_dual_fmac_f32 v40, v41, v41
	v_cmp_gt_f32_e64 s5, 0xf800000, v47
	s_delay_alu instid0(VALU_DEP_2) | instskip(SKIP_1) | instid1(VALU_DEP_2)
	v_mul_f32_e32 v41, 0x4f800000, v40
	v_cmp_gt_f32_e32 vcc_lo, 0xf800000, v40
	v_dual_mul_f32 v39, 0x4f800000, v47 :: v_dual_cndmask_b32 v40, v40, v41
	s_delay_alu instid0(VALU_DEP_1) | instskip(NEXT) | instid1(VALU_DEP_2)
	v_cndmask_b32_e64 v39, v47, v39, s5
	v_sqrt_f32_e32 v46, v40
	s_delay_alu instid0(VALU_DEP_1)
	v_sqrt_f32_e32 v41, v39
	s_waitcnt_depctr 0xfff
	v_add_nc_u32_e32 v48, -1, v46
	v_add_nc_u32_e32 v47, -1, v41
	v_add_nc_u32_e32 v49, 1, v41
	v_add_nc_u32_e32 v50, 1, v46
	s_delay_alu instid0(VALU_DEP_4) | instskip(NEXT) | instid1(VALU_DEP_4)
	v_fma_f32 v52, -v48, v46, v40
	v_fma_f32 v51, -v47, v41, v39
	s_delay_alu instid0(VALU_DEP_4) | instskip(NEXT) | instid1(VALU_DEP_4)
	v_fma_f32 v53, -v49, v41, v39
	v_fma_f32 v54, -v50, v46, v40
	s_delay_alu instid0(VALU_DEP_3) | instskip(NEXT) | instid1(VALU_DEP_3)
	v_cmp_ge_f32_e64 s6, 0, v51
	v_cmp_lt_f32_e64 s7, 0, v53
	s_delay_alu instid0(VALU_DEP_2) | instskip(SKIP_1) | instid1(VALU_DEP_1)
	v_cndmask_b32_e64 v41, v41, v47, s6
	v_cmp_ge_f32_e64 s6, 0, v52
	v_cndmask_b32_e64 v46, v46, v48, s6
	v_cmp_lt_f32_e64 s6, 0, v54
	s_delay_alu instid0(VALU_DEP_1) | instskip(NEXT) | instid1(VALU_DEP_1)
	v_cndmask_b32_e64 v46, v46, v50, s6
	v_mul_f32_e32 v48, 0x37800000, v46
	s_delay_alu instid0(VALU_DEP_1) | instskip(SKIP_2) | instid1(VALU_DEP_2)
	v_cndmask_b32_e32 v46, v46, v48, vcc_lo
	v_cndmask_b32_e64 v41, v41, v49, s7
	v_cmp_class_f32_e64 vcc_lo, v40, 0x260
	v_dual_mul_f32 v47, 0x37800000, v41 :: v_dual_cndmask_b32 v40, v46, v40
	s_delay_alu instid0(VALU_DEP_1) | instskip(SKIP_1) | instid1(VALU_DEP_1)
	v_cndmask_b32_e64 v41, v41, v47, s5
	v_cmp_class_f32_e64 s5, v39, 0x260
	v_cndmask_b32_e64 v39, v41, v39, s5
	s_waitcnt vmcnt(0)
	v_add_f32_e32 v41, v25, v43
	v_cmp_gt_f32_e64 s8, 0, v44
	v_cmp_eq_u32_e32 vcc_lo, 0x46, v42
	v_cmp_eq_u32_e64 s5, 0x45, v42
	v_cmp_lt_f32_e64 s6, 0, v44
	v_sub_f32_e32 v51, v39, v41
	v_cndmask_b32_e64 v42, v38, v24, s8
	s_and_b32 s10, vcc_lo, s3
	s_and_b32 s8, s8, s1
	v_cndmask_b32_e64 v47, 2.0, 4.0, s10
	v_cndmask_b32_e64 v53, 0.5, 0x3e800000, s10
	v_div_scale_f32 v49, null, v42, v42, 1.0
	v_cmp_neq_f32_e64 s7, 0, v44
	v_cndmask_b32_e64 v44, v44, -v44, s8
	s_and_b32 s6, s6, s0
	s_delay_alu instid0(VALU_DEP_3)
	v_rcp_f32_e32 v55, v49
	v_cmp_gt_f32_e64 s8, 0, v51
	v_cmp_lt_f32_e32 vcc_lo, v51, v47
	v_fma_f32 v58, -v53, v51, 1.0
	v_cndmask_b32_e64 v48, v26, -v26, s6
	v_mul_f32_e32 v43, v27, v45
	v_div_scale_f32 v45, null, v41, v41, 1.0
	v_cndmask_b32_e64 v56, 0, 1.0, vcc_lo
	s_delay_alu instid0(VALU_DEP_4) | instskip(SKIP_1) | instid1(VALU_DEP_4)
	v_add_f32_e32 v44, v44, v48
	v_cndmask_b32_e64 v58, v58, 1.0, s8
	v_rcp_f32_e32 v54, v45
	v_fma_f32 v62, -v49, v55, 1.0
	v_sub_f32_e32 v52, v40, v41
	v_div_scale_f32 v46, s9, 1.0, v41, 1.0
	s_delay_alu instid0(VALU_DEP_3) | instskip(SKIP_1) | instid1(VALU_DEP_4)
	v_dual_mul_f32 v56, v56, v58 :: v_dual_fmac_f32 v55, v62, v55
	v_cmp_lt_f32_e32 vcc_lo, v51, v42
	v_cmp_gt_f32_e64 s10, 0, v52
	v_cmp_lt_f32_e64 s11, v52, v47
	v_fma_f32 v53, -v53, v52, 1.0
	s_delay_alu instid0(TRANS32_DEP_1)
	v_fma_f32 v61, -v45, v54, 1.0
	s_and_b32 s27, s7, vcc_lo
	v_div_scale_f32 v50, s6, 1.0, v42, 1.0
	v_cndmask_b32_e64 v47, 0, 1.0, s11
	v_cndmask_b32_e64 v59, 0, 1.0, s27
	;; [unrolled: 1-line block ×3, first 2 shown]
	v_fmac_f32_e32 v54, v61, v54
	v_cndmask_b32_e64 v48, 0, 0x42980000, s8
	s_mov_b32 vcc_lo, s9
	v_mul_f32_e32 v59, v44, v59
	v_mul_f32_e32 v47, v47, v53
	v_dual_mul_f32 v53, v43, v56 :: v_dual_mul_f32 v56, v50, v55
	v_cmp_lt_f32_e64 s11, v52, v42
	s_or_b32 s5, s5, s4
	s_delay_alu instid0(VALU_DEP_3)
	v_mul_f32_e32 v43, v43, v47
	v_mul_f32_e32 v47, v46, v54
	v_fma_f32 v61, -v49, v56, v50
	v_cndmask_b32_e64 v57, 0, 0x42980000, s10
	s_and_b32 s7, s7, s11
	s_add_u32 s22, s22, 16
	v_fma_f32 v58, -v45, v47, v46
	v_fmac_f32_e32 v56, v61, v55
	v_cndmask_b32_e64 v60, 0, 1.0, s7
	s_addc_u32 s23, s23, 0
	s_add_i32 s26, s26, -1
	v_fmac_f32_e32 v47, v58, v54
	s_cmp_lg_u32 s26, 0
	s_delay_alu instid0(VALU_DEP_1) | instskip(SKIP_1) | instid1(VALU_DEP_2)
	v_fma_f32 v45, -v45, v47, v46
	v_fma_f32 v46, -v49, v56, v50
	v_div_fmas_f32 v45, v45, v54, v47
	s_mov_b32 vcc_lo, s6
	s_delay_alu instid0(VALU_DEP_2) | instskip(NEXT) | instid1(VALU_DEP_2)
	v_div_fmas_f32 v46, v46, v55, v56
	v_div_fixup_f32 v41, v45, v41, 1.0
	v_cndmask_b32_e64 v45, v53, -|v53|, s5
	s_delay_alu instid0(VALU_DEP_3) | instskip(NEXT) | instid1(VALU_DEP_3)
	v_div_fixup_f32 v42, v46, v42, 1.0
	v_fma_f32 v39, -v41, v39, 1.0
	v_fma_f32 v40, -v41, v40, 1.0
	s_delay_alu instid0(VALU_DEP_1) | instskip(NEXT) | instid1(VALU_DEP_1)
	v_dual_fmac_f32 v30, v39, v48 :: v_dual_fmac_f32 v31, v40, v57
	v_dual_mul_f32 v39, v44, v60 :: v_dual_fmac_f32 v30, 0x42340000, v45
	v_cndmask_b32_e64 v41, v43, -|v43|, s5
	v_fma_f32 v43, -v42, v51, 1.0
	v_fma_f32 v42, -v42, v52, 1.0
	s_delay_alu instid0(VALU_DEP_3) | instskip(NEXT) | instid1(VALU_DEP_3)
	v_fmac_f32_e32 v31, 0x42340000, v41
	v_cndmask_b32_e64 v40, v43, 1.0, s8
	s_delay_alu instid0(VALU_DEP_3) | instskip(NEXT) | instid1(VALU_DEP_2)
	v_cndmask_b32_e64 v42, v42, 1.0, s10
	v_fmac_f32_e32 v30, v40, v59
	s_delay_alu instid0(VALU_DEP_2)
	v_fmac_f32_e32 v31, v42, v39
	s_cbranch_scc1 .LBB1_29
; %bb.30:                               ;   in Loop: Header=BB1_28 Depth=1
	s_add_i32 s20, s20, 1
	s_delay_alu instid0(SALU_CYCLE_1)
	s_cmp_lg_u32 s20, s25
	s_cbranch_scc1 .LBB1_28
; %bb.31:
	s_and_saveexec_b32 s0, s2
; %bb.32:
	v_dual_mov_b32 v29, 0 :: v_dual_mul_f32 v4, 0.5, v30
	v_mul_f32_e32 v5, 0.5, v31
	s_delay_alu instid0(VALU_DEP_2) | instskip(SKIP_1) | instid1(VALU_DEP_1)
	v_lshlrev_b64 v[0:1], 2, v[28:29]
	v_add_nc_u32_e32 v28, s33, v28
	v_lshlrev_b64 v[2:3], 2, v[28:29]
	s_delay_alu instid0(VALU_DEP_3) | instskip(NEXT) | instid1(VALU_DEP_4)
	v_add_co_u32 v0, vcc_lo, s12, v0
	v_add_co_ci_u32_e32 v1, vcc_lo, s13, v1, vcc_lo
	s_delay_alu instid0(VALU_DEP_3) | instskip(NEXT) | instid1(VALU_DEP_4)
	v_add_co_u32 v2, vcc_lo, s12, v2
	v_add_co_ci_u32_e32 v3, vcc_lo, s13, v3, vcc_lo
	s_clause 0x1
	global_store_b32 v[0:1], v4, off
	global_store_b32 v[2:3], v5, off
; %bb.33:
	s_endpgm
	.section	.rodata,"a",@progbits
	.p2align	6, 0x0
	.amdhsa_kernel _ZL11fasten_mainILm2EEviiPK4AtomS2_PKfS4_S4_S4_S4_S4_PfPK8FFParamsi
		.amdhsa_group_segment_fixed_size 0
		.amdhsa_private_segment_fixed_size 112
		.amdhsa_kernarg_size 352
		.amdhsa_user_sgpr_count 15
		.amdhsa_user_sgpr_dispatch_ptr 0
		.amdhsa_user_sgpr_queue_ptr 0
		.amdhsa_user_sgpr_kernarg_segment_ptr 1
		.amdhsa_user_sgpr_dispatch_id 0
		.amdhsa_user_sgpr_private_segment_size 0
		.amdhsa_wavefront_size32 1
		.amdhsa_uses_dynamic_stack 0
		.amdhsa_enable_private_segment 1
		.amdhsa_system_sgpr_workgroup_id_x 1
		.amdhsa_system_sgpr_workgroup_id_y 0
		.amdhsa_system_sgpr_workgroup_id_z 0
		.amdhsa_system_sgpr_workgroup_info 0
		.amdhsa_system_vgpr_workitem_id 0
		.amdhsa_next_free_vgpr 63
		.amdhsa_next_free_sgpr 34
		.amdhsa_reserve_vcc 1
		.amdhsa_float_round_mode_32 0
		.amdhsa_float_round_mode_16_64 0
		.amdhsa_float_denorm_mode_32 3
		.amdhsa_float_denorm_mode_16_64 3
		.amdhsa_dx10_clamp 1
		.amdhsa_ieee_mode 1
		.amdhsa_fp16_overflow 0
		.amdhsa_workgroup_processor_mode 1
		.amdhsa_memory_ordered 1
		.amdhsa_forward_progress 0
		.amdhsa_shared_vgpr_count 0
		.amdhsa_exception_fp_ieee_invalid_op 0
		.amdhsa_exception_fp_denorm_src 0
		.amdhsa_exception_fp_ieee_div_zero 0
		.amdhsa_exception_fp_ieee_overflow 0
		.amdhsa_exception_fp_ieee_underflow 0
		.amdhsa_exception_fp_ieee_inexact 0
		.amdhsa_exception_int_div_zero 0
	.end_amdhsa_kernel
	.section	.text._ZL11fasten_mainILm2EEviiPK4AtomS2_PKfS4_S4_S4_S4_S4_PfPK8FFParamsi,"axG",@progbits,_ZL11fasten_mainILm2EEviiPK4AtomS2_PKfS4_S4_S4_S4_S4_PfPK8FFParamsi,comdat
.Lfunc_end1:
	.size	_ZL11fasten_mainILm2EEviiPK4AtomS2_PKfS4_S4_S4_S4_S4_PfPK8FFParamsi, .Lfunc_end1-_ZL11fasten_mainILm2EEviiPK4AtomS2_PKfS4_S4_S4_S4_S4_PfPK8FFParamsi
                                        ; -- End function
	.section	.AMDGPU.csdata,"",@progbits
; Kernel info:
; codeLenInByte = 7224
; NumSgprs: 36
; NumVgprs: 63
; ScratchSize: 112
; MemoryBound: 0
; FloatMode: 240
; IeeeMode: 1
; LDSByteSize: 0 bytes/workgroup (compile time only)
; SGPRBlocks: 4
; VGPRBlocks: 7
; NumSGPRsForWavesPerEU: 36
; NumVGPRsForWavesPerEU: 63
; Occupancy: 16
; WaveLimiterHint : 1
; COMPUTE_PGM_RSRC2:SCRATCH_EN: 1
; COMPUTE_PGM_RSRC2:USER_SGPR: 15
; COMPUTE_PGM_RSRC2:TRAP_HANDLER: 0
; COMPUTE_PGM_RSRC2:TGID_X_EN: 1
; COMPUTE_PGM_RSRC2:TGID_Y_EN: 0
; COMPUTE_PGM_RSRC2:TGID_Z_EN: 0
; COMPUTE_PGM_RSRC2:TIDIG_COMP_CNT: 0
	.section	.text._ZL11fasten_mainILm4EEviiPK4AtomS2_PKfS4_S4_S4_S4_S4_PfPK8FFParamsi,"axG",@progbits,_ZL11fasten_mainILm4EEviiPK4AtomS2_PKfS4_S4_S4_S4_S4_PfPK8FFParamsi,comdat
	.globl	_ZL11fasten_mainILm4EEviiPK4AtomS2_PKfS4_S4_S4_S4_S4_PfPK8FFParamsi ; -- Begin function _ZL11fasten_mainILm4EEviiPK4AtomS2_PKfS4_S4_S4_S4_S4_PfPK8FFParamsi
	.p2align	8
	.type	_ZL11fasten_mainILm4EEviiPK4AtomS2_PKfS4_S4_S4_S4_S4_PfPK8FFParamsi,@function
_ZL11fasten_mainILm4EEviiPK4AtomS2_PKfS4_S4_S4_S4_S4_PfPK8FFParamsi: ; @_ZL11fasten_mainILm4EEviiPK4AtomS2_PKfS4_S4_S4_S4_S4_PfPK8FFParamsi
; %bb.0:
	s_clause 0x2
	s_load_b32 s2, s[0:1], 0x6c
	s_load_b32 s3, s[0:1], 0x58
	s_load_b512 s[16:31], s[0:1], 0x8
	v_mov_b32_e32 v3, 0
	s_mov_b32 s8, 0
	s_mov_b64 s[6:7], 0
	s_mov_b32 s10, 0x7fffff
	s_mov_b32 s11, 0xb94c1982
	;; [unrolled: 1-line block ×3, first 2 shown]
                                        ; implicit-def: $vgpr56
                                        ; implicit-def: $vgpr57
                                        ; implicit-def: $vgpr55
                                        ; implicit-def: $vgpr54
	s_waitcnt lgkmcnt(0)
	s_and_b32 s33, s2, 0xffff
	s_add_i32 s4, s3, -4
	s_mul_i32 s15, s15, s33
	s_lshl_b32 s9, s33, 2
	v_lshl_add_u32 v52, s15, 2, v0
	s_delay_alu instid0(VALU_DEP_1) | instskip(NEXT) | instid1(VALU_DEP_1)
	v_cmp_gt_i32_e64 s2, s3, v52
	v_cndmask_b32_e64 v0, s4, v52, s2
	s_delay_alu instid0(VALU_DEP_1) | instskip(NEXT) | instid1(VALU_DEP_1)
	v_ashrrev_i32_e32 v1, 31, v0
	v_lshlrev_b64 v[0:1], 2, v[0:1]
	s_branch .LBB2_2
.LBB2_1:                                ;   in Loop: Header=BB2_2 Depth=1
	s_or_b32 exec_lo, exec_lo, s3
	v_add_co_u32 v20, vcc_lo, s26, v0
	v_add_co_ci_u32_e32 v21, vcc_lo, s27, v1, vcc_lo
	v_add_co_u32 v23, vcc_lo, s28, v0
	v_add_co_ci_u32_e32 v24, vcc_lo, s29, v1, vcc_lo
	;; [unrolled: 2-line block ×3, first 2 shown]
	global_load_b32 v20, v[20:21], off
	global_load_b32 v24, v[23:24], off
	;; [unrolled: 1-line block ×3, first 2 shown]
	v_dual_mul_f32 v21, v18, v18 :: v_dual_and_b32 v26, 1, v16
	v_dual_mul_f32 v30, v8, v8 :: v_dual_and_b32 v23, 1, v19
	v_dual_mul_f32 v32, v6, v6 :: v_dual_lshlrev_b32 v19, 30, v19
	v_mul_f32_e32 v27, v12, v12
	s_delay_alu instid0(VALU_DEP_4) | instskip(SKIP_1) | instid1(VALU_DEP_3)
	v_dual_fmaak_f32 v38, s12, v21, 0xbab64f3b :: v_dual_and_b32 v31, 1, v10
	v_lshlrev_b32_e32 v10, 30, v10
	v_dual_fmaak_f32 v42, s12, v27, 0xbab64f3b :: v_dual_and_b32 v35, 1, v22
	v_dual_fmaak_f32 v37, s11, v21, 0x3c0881c4 :: v_dual_lshlrev_b32 v22, 30, v22
	v_fmaak_f32 v45, s11, v32, 0x3c0881c4
	v_dual_mul_f32 v34, v2, v2 :: v_dual_and_b32 v29, 1, v13
	v_dual_mul_f32 v25, v14, v14 :: v_dual_lshlrev_b32 v16, 30, v16
	s_delay_alu instid0(VALU_DEP_4) | instskip(SKIP_4) | instid1(VALU_DEP_4)
	v_fmaak_f32 v37, v21, v37, 0xbe2aaa9d
	v_fmaak_f32 v46, s12, v32, 0xbab64f3b
	;; [unrolled: 1-line block ×3, first 2 shown]
	v_dual_fmaak_f32 v42, v27, v42, 0x3d2aabf7 :: v_dual_and_b32 v33, 1, v7
	v_fmaak_f32 v40, s12, v25, 0xbab64f3b
	v_dual_mul_f32 v37, v21, v37 :: v_dual_fmaak_f32 v46, v32, v46, 0x3d2aabf7
	s_delay_alu instid0(VALU_DEP_4)
	v_mul_f32_e32 v45, v32, v45
	v_fmaak_f32 v41, s11, v27, 0x3c0881c4
	v_add_nc_u32_e64 v36, s8, 0
	v_fmaak_f32 v39, s11, v25, 0x3c0881c4
	v_fmaak_f32 v46, v32, v46, 0xbf000004
	v_fmac_f32_e32 v6, v6, v45
	v_fmaak_f32 v42, v27, v42, 0xbf000004
	s_add_i32 s5, s8, 0
	v_add_co_u32 v0, vcc_lo, v0, s9
	v_fma_f32 v32, v32, v46, 1.0
	v_fmaak_f32 v41, v27, v41, 0xbe2aaa9d
	v_fmaak_f32 v38, v21, v38, 0x3d2aabf7
	s_cmp_lg_u32 s6, 0
	v_add_co_ci_u32_e32 v1, vcc_lo, 0, v1, vcc_lo
	s_delay_alu instid0(VALU_DEP_3)
	v_mul_f32_e32 v41, v27, v41
	v_fmaak_f32 v43, s11, v30, 0x3c0881c4
	s_cselect_b32 vcc_lo, -1, 0
	s_cmp_lg_u32 s6, 1
	v_dual_fmaak_f32 v48, s12, v34, 0xbab64f3b :: v_dual_add_nc_u32 v49, 16, v36
	v_add_nc_u32_e32 v36, 32, v36
	v_fmaak_f32 v38, v21, v38, 0xbf000004
	v_dual_fmac_f32 v12, v12, v41 :: v_dual_fmaak_f32 v43, v30, v43, 0xbe2aaa9d
	v_fmaak_f32 v40, v25, v40, 0x3d2aabf7
	v_fma_f32 v27, v27, v42, 1.0
	v_fmaak_f32 v39, v25, v39, 0xbe2aaa9d
	v_dual_cndmask_b32 v56, 0, v56 :: v_dual_lshlrev_b32 v13, 30, v13
	s_cselect_b32 vcc_lo, -1, 0
	s_cmp_lg_u32 s6, 2
	v_dual_cndmask_b32 v57, 0, v57 :: v_dual_and_b32 v16, 0x80000000, v16
	s_cselect_b32 vcc_lo, -1, 0
	v_dual_fmaak_f32 v44, s12, v30, 0xbab64f3b :: v_dual_lshlrev_b32 v7, 30, v7
	v_dual_fmac_f32 v18, v18, v37 :: v_dual_and_b32 v19, 0x80000000, v19
	v_dual_cndmask_b32 v55, 0, v55 :: v_dual_and_b32 v10, 0x80000000, v10
	v_dual_mul_f32 v39, v25, v39 :: v_dual_and_b32 v22, 0x80000000, v22
	v_dual_mul_f32 v43, v30, v43 :: v_dual_fmaak_f32 v40, v25, v40, 0xbf000004
	v_fma_f32 v21, v21, v38, 1.0
	v_cmp_eq_u32_e32 vcc_lo, 0, v23
	s_delay_alu instid0(VALU_DEP_4)
	v_dual_fmac_f32 v14, v14, v39 :: v_dual_and_b32 v13, 0x80000000, v13
	v_and_b32_e32 v7, 0x80000000, v7
	v_fmaak_f32 v44, v30, v44, 0x3d2aabf7
	v_fma_f32 v25, v25, v40, 1.0
	v_cndmask_b32_e32 v18, v21, v18, vcc_lo
	v_cmp_eq_u32_e32 vcc_lo, 0, v26
	v_fmac_f32_e32 v8, v8, v43
	v_fmaak_f32 v44, v30, v44, 0xbf000004
	v_xor_b32_e32 v17, v17, v15
	v_cmp_class_f32_e64 s3, v4, 0x1f8
	v_cndmask_b32_e64 v14, -v14, v25, vcc_lo
	v_cmp_eq_u32_e32 vcc_lo, 0, v29
	v_fma_f32 v30, v30, v44, 1.0
	v_xor_b32_e32 v5, v5, v4
	v_xor3_b32 v17, v17, v19, v18
	v_cmp_class_f32_e64 s4, v15, 0x1f8
	v_cndmask_b32_e32 v12, v27, v12, vcc_lo
	v_cmp_eq_u32_e32 vcc_lo, 0, v31
	v_xor_b32_e32 v11, v11, v9
	v_xor_b32_e32 v14, v16, v14
	s_cmp_lg_u32 s6, 3
	v_cndmask_b32_e64 v8, -v8, v30, vcc_lo
	v_cmp_eq_u32_e32 vcc_lo, 0, v33
	s_delay_alu instid0(VALU_DEP_2) | instskip(SKIP_2) | instid1(VALU_DEP_3)
	v_xor_b32_e32 v8, v10, v8
	v_cndmask_b32_e32 v6, v32, v6, vcc_lo
	v_cmp_eq_u32_e32 vcc_lo, 0, v35
	v_cndmask_b32_e64 v8, 0x7fc00000, v8, s3
	v_fmaak_f32 v47, s11, v34, 0x3c0881c4
	s_delay_alu instid0(VALU_DEP_4) | instskip(SKIP_2) | instid1(VALU_DEP_4)
	v_xor3_b32 v4, v5, v7, v6
	v_cndmask_b32_e64 v5, 0x7fc00000, v17, s4
	v_fmaak_f32 v48, v34, v48, 0x3d2aabf7
	v_fmaak_f32 v47, v34, v47, 0xbe2aaa9d
	s_delay_alu instid0(VALU_DEP_4) | instskip(NEXT) | instid1(VALU_DEP_3)
	v_cndmask_b32_e64 v4, 0x7fc00000, v4, s3
	v_fmaak_f32 v48, v34, v48, 0xbf000004
	s_delay_alu instid0(VALU_DEP_3) | instskip(NEXT) | instid1(VALU_DEP_2)
	v_mul_f32_e32 v47, v34, v47
	v_fma_f32 v34, v34, v48, 1.0
	s_delay_alu instid0(VALU_DEP_2) | instskip(NEXT) | instid1(VALU_DEP_1)
	v_fmac_f32_e32 v2, v2, v47
	v_cndmask_b32_e64 v2, -v2, v34, vcc_lo
	v_cmp_class_f32_e64 vcc_lo, v9, 0x1f8
	v_xor3_b32 v9, v11, v13, v12
	v_mul_f32_e32 v11, v8, v5
	s_delay_alu instid0(VALU_DEP_4) | instskip(SKIP_1) | instid1(VALU_DEP_2)
	v_xor_b32_e32 v2, v22, v2
	v_cndmask_b32_e32 v6, 0x7fc00000, v14, vcc_lo
	v_cndmask_b32_e64 v2, 0x7fc00000, v2, s4
	v_cndmask_b32_e32 v7, 0x7fc00000, v9, vcc_lo
	s_cselect_b32 vcc_lo, -1, 0
	s_add_i32 s8, s8, 48
	v_cndmask_b32_e32 v54, 0, v54, vcc_lo
	v_mul_f32_e32 v12, v4, v2
	v_mul_f32_e32 v10, v8, v7
	;; [unrolled: 1-line block ×5, first 2 shown]
	s_add_u32 s6, s6, 1
	v_mul_f32_e32 v19, v10, v2
	v_fma_f32 v18, v9, v2, -v11
	v_fmac_f32_e32 v22, v9, v5
	v_mul_f32_e32 v21, v6, v5
	v_fma_f32 v23, v10, v5, -v12
	v_fmac_f32_e32 v19, v4, v5
	v_xor_b32_e32 v25, 0x80000000, v7
	v_mul_f32_e32 v26, v4, v6
	v_mul_f32_e32 v27, v8, v6
	s_addc_u32 s7, s7, 0
	s_cmpk_lg_i32 s8, 0xc0
	s_waitcnt vmcnt(2)
	scratch_store_b128 off, v[17:20], s5
	s_waitcnt vmcnt(1)
	scratch_store_b128 v49, v[21:24], off
	s_waitcnt vmcnt(0)
	scratch_store_b128 v36, v[25:28], off
	s_cbranch_scc0 .LBB2_26
.LBB2_2:                                ; =>This Inner Loop Header: Depth=1
	s_delay_alu instid0(VALU_DEP_1) | instskip(NEXT) | instid1(VALU_DEP_2)
	v_add_co_u32 v4, vcc_lo, s20, v0
	v_add_co_ci_u32_e32 v5, vcc_lo, s21, v1, vcc_lo
                                        ; implicit-def: $vgpr7
                                        ; implicit-def: $vgpr6
	global_load_b32 v4, v[4:5], off
	s_waitcnt vmcnt(0)
	v_and_b32_e32 v5, 0x7fffffff, v4
	v_cmp_ngt_f32_e64 s13, 0x48000000, |v4|
	s_delay_alu instid0(VALU_DEP_2) | instskip(SKIP_1) | instid1(VALU_DEP_2)
	v_lshrrev_b32_e32 v2, 23, v5
	v_and_or_b32 v9, v5, s10, 0x800000
	v_add_nc_u32_e32 v11, 0xffffff88, v2
	s_delay_alu instid0(VALU_DEP_4) | instskip(NEXT) | instid1(SALU_CYCLE_1)
	s_and_saveexec_b32 s3, s13
	s_xor_b32 s14, exec_lo, s3
	s_cbranch_execz .LBB2_4
; %bb.3:                                ;   in Loop: Header=BB2_2 Depth=1
	v_mad_u64_u32 v[6:7], null, 0xfe5163ab, v9, 0
	v_cmp_lt_u32_e32 vcc_lo, 63, v11
	s_delay_alu instid0(VALU_DEP_2) | instskip(NEXT) | instid1(VALU_DEP_1)
	v_mov_b32_e32 v2, v7
	v_mad_u64_u32 v[7:8], null, 0x3c439041, v9, v[2:3]
	s_delay_alu instid0(VALU_DEP_1) | instskip(SKIP_1) | instid1(VALU_DEP_2)
	v_mov_b32_e32 v2, v8
	v_cndmask_b32_e64 v8, 0, 0xffffffc0, vcc_lo
	v_mad_u64_u32 v[12:13], null, 0xdb629599, v9, v[2:3]
	s_delay_alu instid0(VALU_DEP_2) | instskip(NEXT) | instid1(VALU_DEP_1)
	v_add_nc_u32_e32 v8, v8, v11
	v_cmp_lt_u32_e64 s3, 31, v8
	s_delay_alu instid0(VALU_DEP_3) | instskip(NEXT) | instid1(VALU_DEP_4)
	v_mov_b32_e32 v2, v13
	v_cndmask_b32_e32 v6, v12, v6, vcc_lo
	s_delay_alu instid0(VALU_DEP_3) | instskip(NEXT) | instid1(VALU_DEP_3)
	v_cndmask_b32_e64 v10, 0, 0xffffffe0, s3
	v_mad_u64_u32 v[13:14], null, 0xf534ddc0, v9, v[2:3]
	s_delay_alu instid0(VALU_DEP_2) | instskip(NEXT) | instid1(VALU_DEP_2)
	v_add_nc_u32_e32 v8, v10, v8
	v_mov_b32_e32 v2, v14
	s_delay_alu instid0(VALU_DEP_2) | instskip(NEXT) | instid1(VALU_DEP_4)
	v_cmp_lt_u32_e64 s4, 31, v8
	v_cndmask_b32_e32 v7, v13, v7, vcc_lo
	s_delay_alu instid0(VALU_DEP_3) | instskip(NEXT) | instid1(VALU_DEP_2)
	v_mad_u64_u32 v[14:15], null, 0xfc2757d1, v9, v[2:3]
	v_cndmask_b32_e64 v6, v7, v6, s3
	s_delay_alu instid0(VALU_DEP_2) | instskip(NEXT) | instid1(VALU_DEP_1)
	v_mov_b32_e32 v2, v15
	v_mad_u64_u32 v[15:16], null, 0x4e441529, v9, v[2:3]
	s_delay_alu instid0(VALU_DEP_1) | instskip(NEXT) | instid1(VALU_DEP_2)
	v_mov_b32_e32 v2, v16
	v_cndmask_b32_e32 v10, v15, v13, vcc_lo
	s_delay_alu instid0(VALU_DEP_2) | instskip(SKIP_1) | instid1(VALU_DEP_1)
	v_mad_u64_u32 v[16:17], null, 0xa2f9836e, v9, v[2:3]
	v_cndmask_b32_e64 v2, 0, 0xffffffe0, s4
	v_add_nc_u32_e32 v2, v2, v8
	s_delay_alu instid0(VALU_DEP_3) | instskip(SKIP_1) | instid1(VALU_DEP_3)
	v_dual_cndmask_b32 v16, v16, v14 :: v_dual_cndmask_b32 v15, v17, v15
	v_cndmask_b32_e32 v14, v14, v12, vcc_lo
	v_cmp_eq_u32_e64 s5, 0, v2
	s_delay_alu instid0(VALU_DEP_3) | instskip(NEXT) | instid1(VALU_DEP_4)
	v_cndmask_b32_e64 v8, v16, v10, s3
	v_cndmask_b32_e64 v13, v15, v16, s3
	s_delay_alu instid0(VALU_DEP_4) | instskip(SKIP_2) | instid1(VALU_DEP_4)
	v_cndmask_b32_e64 v10, v10, v14, s3
	v_sub_nc_u32_e32 v15, 32, v2
	v_cndmask_b32_e64 v14, v14, v7, s3
	v_cndmask_b32_e64 v13, v13, v8, s4
	s_delay_alu instid0(VALU_DEP_4) | instskip(NEXT) | instid1(VALU_DEP_3)
	v_cndmask_b32_e64 v8, v8, v10, s4
	v_cndmask_b32_e64 v10, v10, v14, s4
	;; [unrolled: 1-line block ×3, first 2 shown]
	s_delay_alu instid0(VALU_DEP_3) | instskip(NEXT) | instid1(VALU_DEP_3)
	v_alignbit_b32 v16, v13, v8, v15
	v_alignbit_b32 v17, v8, v10, v15
	s_delay_alu instid0(VALU_DEP_3) | instskip(NEXT) | instid1(VALU_DEP_3)
	v_alignbit_b32 v15, v10, v6, v15
	v_cndmask_b32_e64 v2, v16, v13, s5
	s_delay_alu instid0(VALU_DEP_3) | instskip(NEXT) | instid1(VALU_DEP_3)
	v_cndmask_b32_e64 v8, v17, v8, s5
	v_cndmask_b32_e64 v10, v15, v10, s5
	s_delay_alu instid0(VALU_DEP_3) | instskip(NEXT) | instid1(VALU_DEP_3)
	v_bfe_u32 v12, v2, 29, 1
	v_alignbit_b32 v7, v2, v8, 30
	s_delay_alu instid0(VALU_DEP_3) | instskip(SKIP_1) | instid1(VALU_DEP_4)
	v_alignbit_b32 v8, v8, v10, 30
	v_alignbit_b32 v6, v10, v6, 30
	v_sub_nc_u32_e32 v13, 0, v12
	s_delay_alu instid0(VALU_DEP_1) | instskip(SKIP_3) | instid1(VALU_DEP_4)
	v_xor_b32_e32 v14, v7, v13
	v_cmp_ne_u32_e32 vcc_lo, v7, v13
	v_xor_b32_e32 v8, v8, v13
	v_xor_b32_e32 v6, v6, v13
	v_clz_i32_u32_e32 v16, v14
	s_delay_alu instid0(VALU_DEP_1) | instskip(NEXT) | instid1(VALU_DEP_1)
	v_add_nc_u32_e32 v15, 1, v16
	v_cndmask_b32_e32 v7, 33, v15, vcc_lo
	s_delay_alu instid0(VALU_DEP_1) | instskip(NEXT) | instid1(VALU_DEP_1)
	v_sub_nc_u32_e32 v10, 32, v7
	v_alignbit_b32 v13, v14, v8, v10
	v_alignbit_b32 v6, v8, v6, v10
	v_lshrrev_b32_e32 v8, 29, v2
	v_lshrrev_b32_e32 v2, 30, v2
	s_delay_alu instid0(VALU_DEP_3) | instskip(NEXT) | instid1(VALU_DEP_3)
	v_alignbit_b32 v10, v13, v6, 9
	v_lshlrev_b32_e32 v8, 31, v8
	v_alignbit_b32 v13, v7, v13, 9
	s_delay_alu instid0(VALU_DEP_3) | instskip(NEXT) | instid1(VALU_DEP_2)
	v_clz_i32_u32_e32 v14, v10
	v_or_b32_e32 v13, v13, v8
	v_or_b32_e32 v8, 0x33800000, v8
	s_delay_alu instid0(VALU_DEP_3) | instskip(NEXT) | instid1(VALU_DEP_3)
	v_min_u32_e32 v14, 32, v14
	v_xor_b32_e32 v13, 1.0, v13
	s_delay_alu instid0(VALU_DEP_2) | instskip(SKIP_1) | instid1(VALU_DEP_3)
	v_sub_nc_u32_e32 v15, 31, v14
	v_add_lshl_u32 v7, v14, v7, 23
	v_mul_f32_e32 v14, 0x3fc90fda, v13
	s_delay_alu instid0(VALU_DEP_3) | instskip(NEXT) | instid1(VALU_DEP_3)
	v_alignbit_b32 v6, v10, v6, v15
	v_sub_nc_u32_e32 v7, v8, v7
	s_delay_alu instid0(VALU_DEP_3) | instskip(NEXT) | instid1(VALU_DEP_3)
	v_fma_f32 v8, 0x3fc90fda, v13, -v14
	v_lshrrev_b32_e32 v6, 9, v6
	s_delay_alu instid0(VALU_DEP_2) | instskip(NEXT) | instid1(VALU_DEP_2)
	v_fmac_f32_e32 v8, 0x33a22168, v13
	v_or_b32_e32 v6, v7, v6
	v_add_nc_u32_e32 v7, v12, v2
	s_delay_alu instid0(VALU_DEP_2) | instskip(NEXT) | instid1(VALU_DEP_1)
	v_fmac_f32_e32 v8, 0x3fc90fda, v6
	v_add_f32_e32 v6, v14, v8
.LBB2_4:                                ;   in Loop: Header=BB2_2 Depth=1
	s_or_saveexec_b32 s3, s14
	v_mul_f32_e64 v2, 0x3f22f983, |v4|
	s_delay_alu instid0(VALU_DEP_1)
	v_rndne_f32_e32 v2, v2
	s_xor_b32 exec_lo, exec_lo, s3
; %bb.5:                                ;   in Loop: Header=BB2_2 Depth=1
	s_delay_alu instid0(VALU_DEP_1) | instskip(SKIP_1) | instid1(VALU_DEP_2)
	v_fma_f32 v6, 0xbfc90fda, v2, |v4|
	v_cvt_i32_f32_e32 v7, v2
	v_fmac_f32_e32 v6, 0xb3a22168, v2
	s_delay_alu instid0(VALU_DEP_1)
	v_fmac_f32_e32 v6, 0xa7c234c4, v2
; %bb.6:                                ;   in Loop: Header=BB2_2 Depth=1
	s_or_b32 exec_lo, exec_lo, s3
                                        ; implicit-def: $vgpr10
                                        ; implicit-def: $vgpr8
	s_and_saveexec_b32 s3, s13
	s_delay_alu instid0(SALU_CYCLE_1)
	s_xor_b32 s13, exec_lo, s3
	s_cbranch_execz .LBB2_8
; %bb.7:                                ;   in Loop: Header=BB2_2 Depth=1
	v_mad_u64_u32 v[12:13], null, 0xfe5163ab, v9, 0
	v_cmp_lt_u32_e32 vcc_lo, 63, v11
	v_cndmask_b32_e64 v8, 0, 0xffffffc0, vcc_lo
	s_delay_alu instid0(VALU_DEP_3) | instskip(NEXT) | instid1(VALU_DEP_2)
	v_mov_b32_e32 v2, v13
	v_add_nc_u32_e32 v8, v8, v11
	s_delay_alu instid0(VALU_DEP_2) | instskip(NEXT) | instid1(VALU_DEP_2)
	v_mad_u64_u32 v[13:14], null, 0x3c439041, v9, v[2:3]
	v_cmp_lt_u32_e64 s3, 31, v8
	s_delay_alu instid0(VALU_DEP_2) | instskip(NEXT) | instid1(VALU_DEP_1)
	v_mov_b32_e32 v2, v14
	v_mad_u64_u32 v[14:15], null, 0xdb629599, v9, v[2:3]
	s_delay_alu instid0(VALU_DEP_1) | instskip(NEXT) | instid1(VALU_DEP_1)
	v_mov_b32_e32 v2, v15
	v_mad_u64_u32 v[15:16], null, 0xf534ddc0, v9, v[2:3]
	s_delay_alu instid0(VALU_DEP_1) | instskip(NEXT) | instid1(VALU_DEP_1)
	v_mov_b32_e32 v2, v16
	v_mad_u64_u32 v[16:17], null, 0xfc2757d1, v9, v[2:3]
	s_delay_alu instid0(VALU_DEP_1) | instskip(SKIP_1) | instid1(VALU_DEP_2)
	v_mov_b32_e32 v2, v17
	v_cndmask_b32_e64 v17, 0, 0xffffffe0, s3
	v_mad_u64_u32 v[10:11], null, 0x4e441529, v9, v[2:3]
	s_delay_alu instid0(VALU_DEP_2) | instskip(NEXT) | instid1(VALU_DEP_1)
	v_add_nc_u32_e32 v8, v17, v8
	v_cmp_lt_u32_e64 s4, 31, v8
	s_delay_alu instid0(VALU_DEP_3) | instskip(NEXT) | instid1(VALU_DEP_1)
	v_mov_b32_e32 v2, v11
	v_mad_u64_u32 v[17:18], null, 0xa2f9836e, v9, v[2:3]
	s_delay_alu instid0(VALU_DEP_3) | instskip(SKIP_1) | instid1(VALU_DEP_2)
	v_cndmask_b32_e64 v2, 0, 0xffffffe0, s4
	v_cndmask_b32_e32 v9, v10, v15, vcc_lo
	v_add_nc_u32_e32 v2, v2, v8
	s_delay_alu instid0(VALU_DEP_4) | instskip(SKIP_2) | instid1(VALU_DEP_4)
	v_dual_cndmask_b32 v11, v17, v16 :: v_dual_cndmask_b32 v10, v18, v10
	v_cndmask_b32_e32 v16, v16, v14, vcc_lo
	v_cndmask_b32_e32 v8, v15, v13, vcc_lo
	v_cmp_eq_u32_e64 s5, 0, v2
	s_delay_alu instid0(VALU_DEP_4) | instskip(SKIP_4) | instid1(VALU_DEP_4)
	v_cndmask_b32_e64 v13, v11, v9, s3
	v_cndmask_b32_e64 v10, v10, v11, s3
	;; [unrolled: 1-line block ×3, first 2 shown]
	v_sub_nc_u32_e32 v11, 32, v2
	v_cndmask_b32_e64 v15, v16, v8, s3
	v_cndmask_b32_e64 v10, v10, v13, s4
	s_delay_alu instid0(VALU_DEP_4) | instskip(NEXT) | instid1(VALU_DEP_3)
	v_cndmask_b32_e64 v13, v13, v9, s4
	v_cndmask_b32_e64 v9, v9, v15, s4
	s_delay_alu instid0(VALU_DEP_2) | instskip(NEXT) | instid1(VALU_DEP_2)
	v_alignbit_b32 v16, v10, v13, v11
	v_alignbit_b32 v17, v13, v9, v11
	s_delay_alu instid0(VALU_DEP_2) | instskip(SKIP_1) | instid1(VALU_DEP_3)
	v_cndmask_b32_e64 v2, v16, v10, s5
	v_cndmask_b32_e32 v10, v14, v12, vcc_lo
	v_cndmask_b32_e64 v12, v17, v13, s5
	s_delay_alu instid0(VALU_DEP_3) | instskip(NEXT) | instid1(VALU_DEP_3)
	v_bfe_u32 v13, v2, 29, 1
	v_cndmask_b32_e64 v8, v8, v10, s3
	s_delay_alu instid0(VALU_DEP_3) | instskip(NEXT) | instid1(VALU_DEP_3)
	v_alignbit_b32 v10, v2, v12, 30
	v_sub_nc_u32_e32 v14, 0, v13
	s_delay_alu instid0(VALU_DEP_3) | instskip(NEXT) | instid1(VALU_DEP_2)
	v_cndmask_b32_e64 v8, v15, v8, s4
	v_xor_b32_e32 v15, v10, v14
	s_delay_alu instid0(VALU_DEP_2) | instskip(SKIP_1) | instid1(VALU_DEP_3)
	v_alignbit_b32 v11, v9, v8, v11
	v_cmp_ne_u32_e32 vcc_lo, v10, v14
	v_clz_i32_u32_e32 v16, v15
	s_delay_alu instid0(VALU_DEP_3) | instskip(NEXT) | instid1(VALU_DEP_2)
	v_cndmask_b32_e64 v9, v11, v9, s5
	v_add_nc_u32_e32 v11, 1, v16
	s_delay_alu instid0(VALU_DEP_2) | instskip(SKIP_1) | instid1(VALU_DEP_3)
	v_alignbit_b32 v12, v12, v9, 30
	v_alignbit_b32 v8, v9, v8, 30
	v_cndmask_b32_e32 v10, 33, v11, vcc_lo
	s_delay_alu instid0(VALU_DEP_3) | instskip(NEXT) | instid1(VALU_DEP_3)
	v_xor_b32_e32 v9, v12, v14
	v_xor_b32_e32 v8, v8, v14
	s_delay_alu instid0(VALU_DEP_3) | instskip(NEXT) | instid1(VALU_DEP_1)
	v_sub_nc_u32_e32 v11, 32, v10
	v_alignbit_b32 v12, v15, v9, v11
	s_delay_alu instid0(VALU_DEP_3) | instskip(SKIP_2) | instid1(VALU_DEP_3)
	v_alignbit_b32 v8, v9, v8, v11
	v_lshrrev_b32_e32 v9, 29, v2
	v_lshrrev_b32_e32 v2, 30, v2
	v_alignbit_b32 v11, v12, v8, 9
	s_delay_alu instid0(VALU_DEP_3) | instskip(SKIP_1) | instid1(VALU_DEP_3)
	v_lshlrev_b32_e32 v9, 31, v9
	v_alignbit_b32 v12, v10, v12, 9
	v_clz_i32_u32_e32 v14, v11
	s_delay_alu instid0(VALU_DEP_2) | instskip(SKIP_1) | instid1(VALU_DEP_3)
	v_or_b32_e32 v12, v12, v9
	v_or_b32_e32 v9, 0x33800000, v9
	v_min_u32_e32 v14, 32, v14
	s_delay_alu instid0(VALU_DEP_3) | instskip(NEXT) | instid1(VALU_DEP_2)
	v_xor_b32_e32 v12, 1.0, v12
	v_sub_nc_u32_e32 v15, 31, v14
	v_add_lshl_u32 v10, v14, v10, 23
	s_delay_alu instid0(VALU_DEP_3) | instskip(NEXT) | instid1(VALU_DEP_3)
	v_mul_f32_e32 v14, 0x3fc90fda, v12
	v_alignbit_b32 v8, v11, v8, v15
	s_delay_alu instid0(VALU_DEP_3) | instskip(NEXT) | instid1(VALU_DEP_3)
	v_sub_nc_u32_e32 v9, v9, v10
	v_fma_f32 v10, 0x3fc90fda, v12, -v14
	s_delay_alu instid0(VALU_DEP_3) | instskip(NEXT) | instid1(VALU_DEP_2)
	v_lshrrev_b32_e32 v8, 9, v8
	v_fmac_f32_e32 v10, 0x33a22168, v12
	s_delay_alu instid0(VALU_DEP_2) | instskip(NEXT) | instid1(VALU_DEP_1)
	v_or_b32_e32 v8, v9, v8
	v_fmac_f32_e32 v10, 0x3fc90fda, v8
	s_delay_alu instid0(VALU_DEP_1)
	v_add_f32_e32 v8, v14, v10
	v_add_nc_u32_e32 v10, v13, v2
                                        ; implicit-def: $vgpr2
	s_and_not1_saveexec_b32 s3, s13
	s_cbranch_execnz .LBB2_9
	s_branch .LBB2_10
.LBB2_8:                                ;   in Loop: Header=BB2_2 Depth=1
	s_and_not1_saveexec_b32 s3, s13
.LBB2_9:                                ;   in Loop: Header=BB2_2 Depth=1
	v_fma_f32 v8, 0xbfc90fda, v2, |v4|
	v_cvt_i32_f32_e32 v10, v2
	s_delay_alu instid0(VALU_DEP_2) | instskip(NEXT) | instid1(VALU_DEP_1)
	v_fmac_f32_e32 v8, 0xb3a22168, v2
	v_fmac_f32_e32 v8, 0xa7c234c4, v2
.LBB2_10:                               ;   in Loop: Header=BB2_2 Depth=1
	s_or_b32 exec_lo, exec_lo, s3
	v_add_co_u32 v11, vcc_lo, s22, v0
	v_add_co_ci_u32_e32 v12, vcc_lo, s23, v1, vcc_lo
                                        ; implicit-def: $vgpr13
	global_load_b32 v9, v[11:12], off
                                        ; implicit-def: $vgpr12
	s_waitcnt vmcnt(0)
	v_and_b32_e32 v11, 0x7fffffff, v9
	v_cmp_ngt_f32_e64 s13, 0x48000000, |v9|
	s_delay_alu instid0(VALU_DEP_2) | instskip(SKIP_1) | instid1(VALU_DEP_2)
	v_lshrrev_b32_e32 v2, 23, v11
	v_and_or_b32 v15, v11, s10, 0x800000
	v_add_nc_u32_e32 v17, 0xffffff88, v2
	s_delay_alu instid0(VALU_DEP_4) | instskip(NEXT) | instid1(SALU_CYCLE_1)
	s_and_saveexec_b32 s3, s13
	s_xor_b32 s14, exec_lo, s3
	s_cbranch_execz .LBB2_12
; %bb.11:                               ;   in Loop: Header=BB2_2 Depth=1
	v_mad_u64_u32 v[12:13], null, 0xfe5163ab, v15, 0
	v_cmp_lt_u32_e32 vcc_lo, 63, v17
	s_delay_alu instid0(VALU_DEP_2) | instskip(NEXT) | instid1(VALU_DEP_1)
	v_mov_b32_e32 v2, v13
	v_mad_u64_u32 v[13:14], null, 0x3c439041, v15, v[2:3]
	s_delay_alu instid0(VALU_DEP_1) | instskip(SKIP_1) | instid1(VALU_DEP_2)
	v_mov_b32_e32 v2, v14
	v_cndmask_b32_e64 v14, 0, 0xffffffc0, vcc_lo
	v_mad_u64_u32 v[18:19], null, 0xdb629599, v15, v[2:3]
	s_delay_alu instid0(VALU_DEP_2) | instskip(NEXT) | instid1(VALU_DEP_1)
	v_add_nc_u32_e32 v14, v14, v17
	v_cmp_lt_u32_e64 s3, 31, v14
	s_delay_alu instid0(VALU_DEP_3) | instskip(NEXT) | instid1(VALU_DEP_4)
	v_mov_b32_e32 v2, v19
	v_cndmask_b32_e32 v12, v18, v12, vcc_lo
	s_delay_alu instid0(VALU_DEP_3) | instskip(NEXT) | instid1(VALU_DEP_3)
	v_cndmask_b32_e64 v16, 0, 0xffffffe0, s3
	v_mad_u64_u32 v[19:20], null, 0xf534ddc0, v15, v[2:3]
	s_delay_alu instid0(VALU_DEP_2) | instskip(NEXT) | instid1(VALU_DEP_2)
	v_add_nc_u32_e32 v14, v16, v14
	v_mov_b32_e32 v2, v20
	s_delay_alu instid0(VALU_DEP_2) | instskip(NEXT) | instid1(VALU_DEP_4)
	v_cmp_lt_u32_e64 s4, 31, v14
	v_cndmask_b32_e32 v13, v19, v13, vcc_lo
	s_delay_alu instid0(VALU_DEP_3) | instskip(NEXT) | instid1(VALU_DEP_2)
	v_mad_u64_u32 v[20:21], null, 0xfc2757d1, v15, v[2:3]
	v_cndmask_b32_e64 v12, v13, v12, s3
	s_delay_alu instid0(VALU_DEP_2) | instskip(NEXT) | instid1(VALU_DEP_1)
	v_mov_b32_e32 v2, v21
	v_mad_u64_u32 v[21:22], null, 0x4e441529, v15, v[2:3]
	s_delay_alu instid0(VALU_DEP_1) | instskip(NEXT) | instid1(VALU_DEP_2)
	v_mov_b32_e32 v2, v22
	v_cndmask_b32_e32 v16, v21, v19, vcc_lo
	s_delay_alu instid0(VALU_DEP_2) | instskip(SKIP_1) | instid1(VALU_DEP_1)
	v_mad_u64_u32 v[22:23], null, 0xa2f9836e, v15, v[2:3]
	v_cndmask_b32_e64 v2, 0, 0xffffffe0, s4
	v_add_nc_u32_e32 v2, v2, v14
	s_delay_alu instid0(VALU_DEP_3) | instskip(SKIP_1) | instid1(VALU_DEP_3)
	v_dual_cndmask_b32 v22, v22, v20 :: v_dual_cndmask_b32 v21, v23, v21
	v_cndmask_b32_e32 v20, v20, v18, vcc_lo
	v_cmp_eq_u32_e64 s5, 0, v2
	s_delay_alu instid0(VALU_DEP_3) | instskip(NEXT) | instid1(VALU_DEP_4)
	v_cndmask_b32_e64 v14, v22, v16, s3
	v_cndmask_b32_e64 v19, v21, v22, s3
	s_delay_alu instid0(VALU_DEP_4) | instskip(SKIP_2) | instid1(VALU_DEP_4)
	v_cndmask_b32_e64 v16, v16, v20, s3
	v_sub_nc_u32_e32 v21, 32, v2
	v_cndmask_b32_e64 v20, v20, v13, s3
	v_cndmask_b32_e64 v19, v19, v14, s4
	s_delay_alu instid0(VALU_DEP_4) | instskip(NEXT) | instid1(VALU_DEP_3)
	v_cndmask_b32_e64 v14, v14, v16, s4
	v_cndmask_b32_e64 v16, v16, v20, s4
	;; [unrolled: 1-line block ×3, first 2 shown]
	s_delay_alu instid0(VALU_DEP_3) | instskip(NEXT) | instid1(VALU_DEP_3)
	v_alignbit_b32 v22, v19, v14, v21
	v_alignbit_b32 v23, v14, v16, v21
	s_delay_alu instid0(VALU_DEP_3) | instskip(NEXT) | instid1(VALU_DEP_3)
	v_alignbit_b32 v21, v16, v12, v21
	v_cndmask_b32_e64 v2, v22, v19, s5
	s_delay_alu instid0(VALU_DEP_3) | instskip(NEXT) | instid1(VALU_DEP_3)
	v_cndmask_b32_e64 v14, v23, v14, s5
	v_cndmask_b32_e64 v16, v21, v16, s5
	s_delay_alu instid0(VALU_DEP_3) | instskip(NEXT) | instid1(VALU_DEP_3)
	v_bfe_u32 v18, v2, 29, 1
	v_alignbit_b32 v13, v2, v14, 30
	s_delay_alu instid0(VALU_DEP_3) | instskip(SKIP_1) | instid1(VALU_DEP_4)
	v_alignbit_b32 v14, v14, v16, 30
	v_alignbit_b32 v12, v16, v12, 30
	v_sub_nc_u32_e32 v19, 0, v18
	s_delay_alu instid0(VALU_DEP_1) | instskip(SKIP_3) | instid1(VALU_DEP_4)
	v_xor_b32_e32 v20, v13, v19
	v_cmp_ne_u32_e32 vcc_lo, v13, v19
	v_xor_b32_e32 v14, v14, v19
	v_xor_b32_e32 v12, v12, v19
	v_clz_i32_u32_e32 v22, v20
	s_delay_alu instid0(VALU_DEP_1) | instskip(NEXT) | instid1(VALU_DEP_1)
	v_add_nc_u32_e32 v21, 1, v22
	v_cndmask_b32_e32 v13, 33, v21, vcc_lo
	s_delay_alu instid0(VALU_DEP_1) | instskip(NEXT) | instid1(VALU_DEP_1)
	v_sub_nc_u32_e32 v16, 32, v13
	v_alignbit_b32 v19, v20, v14, v16
	v_alignbit_b32 v12, v14, v12, v16
	v_lshrrev_b32_e32 v14, 29, v2
	v_lshrrev_b32_e32 v2, 30, v2
	s_delay_alu instid0(VALU_DEP_3) | instskip(NEXT) | instid1(VALU_DEP_3)
	v_alignbit_b32 v16, v19, v12, 9
	v_lshlrev_b32_e32 v14, 31, v14
	v_alignbit_b32 v19, v13, v19, 9
	s_delay_alu instid0(VALU_DEP_3) | instskip(NEXT) | instid1(VALU_DEP_2)
	v_clz_i32_u32_e32 v20, v16
	v_or_b32_e32 v19, v19, v14
	v_or_b32_e32 v14, 0x33800000, v14
	s_delay_alu instid0(VALU_DEP_3) | instskip(NEXT) | instid1(VALU_DEP_3)
	v_min_u32_e32 v20, 32, v20
	v_xor_b32_e32 v19, 1.0, v19
	s_delay_alu instid0(VALU_DEP_2) | instskip(SKIP_1) | instid1(VALU_DEP_3)
	v_sub_nc_u32_e32 v21, 31, v20
	v_add_lshl_u32 v13, v20, v13, 23
	v_mul_f32_e32 v20, 0x3fc90fda, v19
	s_delay_alu instid0(VALU_DEP_3) | instskip(NEXT) | instid1(VALU_DEP_3)
	v_alignbit_b32 v12, v16, v12, v21
	v_sub_nc_u32_e32 v13, v14, v13
	s_delay_alu instid0(VALU_DEP_3) | instskip(NEXT) | instid1(VALU_DEP_3)
	v_fma_f32 v14, 0x3fc90fda, v19, -v20
	v_lshrrev_b32_e32 v12, 9, v12
	s_delay_alu instid0(VALU_DEP_2) | instskip(NEXT) | instid1(VALU_DEP_2)
	v_fmac_f32_e32 v14, 0x33a22168, v19
	v_or_b32_e32 v12, v13, v12
	s_delay_alu instid0(VALU_DEP_1) | instskip(NEXT) | instid1(VALU_DEP_1)
	v_dual_fmac_f32 v14, 0x3fc90fda, v12 :: v_dual_add_nc_u32 v13, v18, v2
	v_add_f32_e32 v12, v20, v14
.LBB2_12:                               ;   in Loop: Header=BB2_2 Depth=1
	s_or_saveexec_b32 s3, s14
	v_mul_f32_e64 v2, 0x3f22f983, |v9|
	s_delay_alu instid0(VALU_DEP_1)
	v_rndne_f32_e32 v2, v2
	s_xor_b32 exec_lo, exec_lo, s3
; %bb.13:                               ;   in Loop: Header=BB2_2 Depth=1
	s_delay_alu instid0(VALU_DEP_1) | instskip(SKIP_1) | instid1(VALU_DEP_2)
	v_fma_f32 v12, 0xbfc90fda, v2, |v9|
	v_cvt_i32_f32_e32 v13, v2
	v_fmac_f32_e32 v12, 0xb3a22168, v2
	s_delay_alu instid0(VALU_DEP_1)
	v_fmac_f32_e32 v12, 0xa7c234c4, v2
; %bb.14:                               ;   in Loop: Header=BB2_2 Depth=1
	s_or_b32 exec_lo, exec_lo, s3
                                        ; implicit-def: $vgpr16
                                        ; implicit-def: $vgpr14
	s_and_saveexec_b32 s3, s13
	s_delay_alu instid0(SALU_CYCLE_1)
	s_xor_b32 s13, exec_lo, s3
	s_cbranch_execz .LBB2_16
; %bb.15:                               ;   in Loop: Header=BB2_2 Depth=1
	v_mad_u64_u32 v[18:19], null, 0xfe5163ab, v15, 0
	v_cmp_lt_u32_e32 vcc_lo, 63, v17
	v_cndmask_b32_e64 v14, 0, 0xffffffc0, vcc_lo
	s_delay_alu instid0(VALU_DEP_3) | instskip(NEXT) | instid1(VALU_DEP_2)
	v_mov_b32_e32 v2, v19
	v_add_nc_u32_e32 v14, v14, v17
	s_delay_alu instid0(VALU_DEP_2) | instskip(NEXT) | instid1(VALU_DEP_2)
	v_mad_u64_u32 v[19:20], null, 0x3c439041, v15, v[2:3]
	v_cmp_lt_u32_e64 s3, 31, v14
	s_delay_alu instid0(VALU_DEP_2) | instskip(NEXT) | instid1(VALU_DEP_1)
	v_mov_b32_e32 v2, v20
	v_mad_u64_u32 v[20:21], null, 0xdb629599, v15, v[2:3]
	s_delay_alu instid0(VALU_DEP_1) | instskip(NEXT) | instid1(VALU_DEP_1)
	v_mov_b32_e32 v2, v21
	v_mad_u64_u32 v[21:22], null, 0xf534ddc0, v15, v[2:3]
	s_delay_alu instid0(VALU_DEP_1) | instskip(NEXT) | instid1(VALU_DEP_1)
	v_mov_b32_e32 v2, v22
	v_mad_u64_u32 v[22:23], null, 0xfc2757d1, v15, v[2:3]
	s_delay_alu instid0(VALU_DEP_1) | instskip(SKIP_1) | instid1(VALU_DEP_2)
	v_mov_b32_e32 v2, v23
	v_cndmask_b32_e64 v23, 0, 0xffffffe0, s3
	v_mad_u64_u32 v[16:17], null, 0x4e441529, v15, v[2:3]
	s_delay_alu instid0(VALU_DEP_2) | instskip(NEXT) | instid1(VALU_DEP_1)
	v_add_nc_u32_e32 v14, v23, v14
	v_cmp_lt_u32_e64 s4, 31, v14
	s_delay_alu instid0(VALU_DEP_3) | instskip(NEXT) | instid1(VALU_DEP_1)
	v_mov_b32_e32 v2, v17
	v_mad_u64_u32 v[23:24], null, 0xa2f9836e, v15, v[2:3]
	s_delay_alu instid0(VALU_DEP_3) | instskip(NEXT) | instid1(VALU_DEP_1)
	v_cndmask_b32_e64 v2, 0, 0xffffffe0, s4
	v_dual_cndmask_b32 v15, v16, v21 :: v_dual_add_nc_u32 v2, v2, v14
	s_delay_alu instid0(VALU_DEP_3) | instskip(SKIP_2) | instid1(VALU_DEP_4)
	v_dual_cndmask_b32 v17, v23, v22 :: v_dual_cndmask_b32 v16, v24, v16
	v_cndmask_b32_e32 v22, v22, v20, vcc_lo
	v_cndmask_b32_e32 v14, v21, v19, vcc_lo
	v_cmp_eq_u32_e64 s5, 0, v2
	s_delay_alu instid0(VALU_DEP_4) | instskip(SKIP_4) | instid1(VALU_DEP_4)
	v_cndmask_b32_e64 v19, v17, v15, s3
	v_cndmask_b32_e64 v16, v16, v17, s3
	;; [unrolled: 1-line block ×3, first 2 shown]
	v_sub_nc_u32_e32 v17, 32, v2
	v_cndmask_b32_e64 v21, v22, v14, s3
	v_cndmask_b32_e64 v16, v16, v19, s4
	s_delay_alu instid0(VALU_DEP_4) | instskip(NEXT) | instid1(VALU_DEP_3)
	v_cndmask_b32_e64 v19, v19, v15, s4
	v_cndmask_b32_e64 v15, v15, v21, s4
	s_delay_alu instid0(VALU_DEP_2) | instskip(NEXT) | instid1(VALU_DEP_2)
	v_alignbit_b32 v22, v16, v19, v17
	v_alignbit_b32 v23, v19, v15, v17
	s_delay_alu instid0(VALU_DEP_2) | instskip(SKIP_1) | instid1(VALU_DEP_3)
	v_cndmask_b32_e64 v2, v22, v16, s5
	v_cndmask_b32_e32 v16, v20, v18, vcc_lo
	v_cndmask_b32_e64 v18, v23, v19, s5
	s_delay_alu instid0(VALU_DEP_3) | instskip(NEXT) | instid1(VALU_DEP_3)
	v_bfe_u32 v19, v2, 29, 1
	v_cndmask_b32_e64 v14, v14, v16, s3
	s_delay_alu instid0(VALU_DEP_3) | instskip(NEXT) | instid1(VALU_DEP_3)
	v_alignbit_b32 v16, v2, v18, 30
	v_sub_nc_u32_e32 v20, 0, v19
	s_delay_alu instid0(VALU_DEP_3) | instskip(NEXT) | instid1(VALU_DEP_2)
	v_cndmask_b32_e64 v14, v21, v14, s4
	v_xor_b32_e32 v21, v16, v20
	s_delay_alu instid0(VALU_DEP_2) | instskip(SKIP_1) | instid1(VALU_DEP_3)
	v_alignbit_b32 v17, v15, v14, v17
	v_cmp_ne_u32_e32 vcc_lo, v16, v20
	v_clz_i32_u32_e32 v22, v21
	s_delay_alu instid0(VALU_DEP_3) | instskip(NEXT) | instid1(VALU_DEP_2)
	v_cndmask_b32_e64 v15, v17, v15, s5
	v_add_nc_u32_e32 v17, 1, v22
	s_delay_alu instid0(VALU_DEP_2) | instskip(SKIP_1) | instid1(VALU_DEP_3)
	v_alignbit_b32 v18, v18, v15, 30
	v_alignbit_b32 v14, v15, v14, 30
	v_cndmask_b32_e32 v16, 33, v17, vcc_lo
	s_delay_alu instid0(VALU_DEP_3) | instskip(NEXT) | instid1(VALU_DEP_3)
	v_xor_b32_e32 v15, v18, v20
	v_xor_b32_e32 v14, v14, v20
	s_delay_alu instid0(VALU_DEP_3) | instskip(NEXT) | instid1(VALU_DEP_1)
	v_sub_nc_u32_e32 v17, 32, v16
	v_alignbit_b32 v18, v21, v15, v17
	s_delay_alu instid0(VALU_DEP_3) | instskip(SKIP_2) | instid1(VALU_DEP_3)
	v_alignbit_b32 v14, v15, v14, v17
	v_lshrrev_b32_e32 v15, 29, v2
	v_lshrrev_b32_e32 v2, 30, v2
	v_alignbit_b32 v17, v18, v14, 9
	s_delay_alu instid0(VALU_DEP_3) | instskip(SKIP_1) | instid1(VALU_DEP_3)
	v_lshlrev_b32_e32 v15, 31, v15
	v_alignbit_b32 v18, v16, v18, 9
	v_clz_i32_u32_e32 v20, v17
	s_delay_alu instid0(VALU_DEP_2) | instskip(SKIP_1) | instid1(VALU_DEP_3)
	v_or_b32_e32 v18, v18, v15
	v_or_b32_e32 v15, 0x33800000, v15
	v_min_u32_e32 v20, 32, v20
	s_delay_alu instid0(VALU_DEP_3) | instskip(NEXT) | instid1(VALU_DEP_2)
	v_xor_b32_e32 v18, 1.0, v18
	v_sub_nc_u32_e32 v21, 31, v20
	v_add_lshl_u32 v16, v20, v16, 23
	s_delay_alu instid0(VALU_DEP_3) | instskip(NEXT) | instid1(VALU_DEP_3)
	v_mul_f32_e32 v20, 0x3fc90fda, v18
	v_alignbit_b32 v14, v17, v14, v21
	s_delay_alu instid0(VALU_DEP_3) | instskip(NEXT) | instid1(VALU_DEP_3)
	v_sub_nc_u32_e32 v15, v15, v16
	v_fma_f32 v16, 0x3fc90fda, v18, -v20
	s_delay_alu instid0(VALU_DEP_3) | instskip(NEXT) | instid1(VALU_DEP_2)
	v_lshrrev_b32_e32 v14, 9, v14
	v_fmac_f32_e32 v16, 0x33a22168, v18
	s_delay_alu instid0(VALU_DEP_2) | instskip(NEXT) | instid1(VALU_DEP_1)
	v_or_b32_e32 v14, v15, v14
	v_fmac_f32_e32 v16, 0x3fc90fda, v14
	s_delay_alu instid0(VALU_DEP_1)
	v_add_f32_e32 v14, v20, v16
	v_add_nc_u32_e32 v16, v19, v2
                                        ; implicit-def: $vgpr2
	s_and_not1_saveexec_b32 s3, s13
	s_cbranch_execnz .LBB2_17
	s_branch .LBB2_18
.LBB2_16:                               ;   in Loop: Header=BB2_2 Depth=1
	s_and_not1_saveexec_b32 s3, s13
.LBB2_17:                               ;   in Loop: Header=BB2_2 Depth=1
	v_fma_f32 v14, 0xbfc90fda, v2, |v9|
	v_cvt_i32_f32_e32 v16, v2
	s_delay_alu instid0(VALU_DEP_2) | instskip(NEXT) | instid1(VALU_DEP_1)
	v_fmac_f32_e32 v14, 0xb3a22168, v2
	v_fmac_f32_e32 v14, 0xa7c234c4, v2
.LBB2_18:                               ;   in Loop: Header=BB2_2 Depth=1
	s_or_b32 exec_lo, exec_lo, s3
	v_add_co_u32 v17, vcc_lo, s24, v0
	v_add_co_ci_u32_e32 v18, vcc_lo, s25, v1, vcc_lo
                                        ; implicit-def: $vgpr19
	global_load_b32 v15, v[17:18], off
                                        ; implicit-def: $vgpr18
	s_waitcnt vmcnt(0)
	v_and_b32_e32 v17, 0x7fffffff, v15
	v_cmp_ngt_f32_e64 s13, 0x48000000, |v15|
	s_delay_alu instid0(VALU_DEP_2) | instskip(SKIP_1) | instid1(VALU_DEP_2)
	v_lshrrev_b32_e32 v2, 23, v17
	v_and_or_b32 v20, v17, s10, 0x800000
	v_add_nc_u32_e32 v21, 0xffffff88, v2
	s_delay_alu instid0(VALU_DEP_4) | instskip(NEXT) | instid1(SALU_CYCLE_1)
	s_and_saveexec_b32 s3, s13
	s_xor_b32 s14, exec_lo, s3
	s_cbranch_execz .LBB2_20
; %bb.19:                               ;   in Loop: Header=BB2_2 Depth=1
	v_mad_u64_u32 v[18:19], null, 0xfe5163ab, v20, 0
	v_cmp_lt_u32_e32 vcc_lo, 63, v21
	s_delay_alu instid0(VALU_DEP_2) | instskip(SKIP_1) | instid1(VALU_DEP_1)
	v_mov_b32_e32 v2, v19
	v_cndmask_b32_e64 v19, 0, 0xffffffc0, vcc_lo
	v_add_nc_u32_e32 v19, v19, v21
	s_delay_alu instid0(VALU_DEP_1) | instskip(NEXT) | instid1(VALU_DEP_1)
	v_cmp_lt_u32_e64 s3, 31, v19
	v_cndmask_b32_e64 v28, 0, 0xffffffe0, s3
	s_delay_alu instid0(VALU_DEP_1) | instskip(SKIP_1) | instid1(VALU_DEP_2)
	v_add_nc_u32_e32 v19, v28, v19
	v_mad_u64_u32 v[22:23], null, 0x3c439041, v20, v[2:3]
	v_cmp_lt_u32_e64 s4, 31, v19
	s_delay_alu instid0(VALU_DEP_2) | instskip(NEXT) | instid1(VALU_DEP_1)
	v_mov_b32_e32 v2, v23
	v_mad_u64_u32 v[23:24], null, 0xdb629599, v20, v[2:3]
	s_delay_alu instid0(VALU_DEP_1) | instskip(NEXT) | instid1(VALU_DEP_2)
	v_mov_b32_e32 v2, v24
	v_cndmask_b32_e32 v18, v23, v18, vcc_lo
	s_delay_alu instid0(VALU_DEP_2) | instskip(NEXT) | instid1(VALU_DEP_1)
	v_mad_u64_u32 v[24:25], null, 0xf534ddc0, v20, v[2:3]
	v_mov_b32_e32 v2, v25
	s_delay_alu instid0(VALU_DEP_1) | instskip(NEXT) | instid1(VALU_DEP_1)
	v_mad_u64_u32 v[25:26], null, 0xfc2757d1, v20, v[2:3]
	v_mov_b32_e32 v2, v26
	s_delay_alu instid0(VALU_DEP_1) | instskip(NEXT) | instid1(VALU_DEP_1)
	v_mad_u64_u32 v[26:27], null, 0x4e441529, v20, v[2:3]
	v_dual_mov_b32 v2, v27 :: v_dual_cndmask_b32 v29, v26, v24
	s_delay_alu instid0(VALU_DEP_1) | instskip(SKIP_1) | instid1(VALU_DEP_1)
	v_mad_u64_u32 v[27:28], null, 0xa2f9836e, v20, v[2:3]
	v_cndmask_b32_e64 v2, 0, 0xffffffe0, s4
	v_dual_cndmask_b32 v27, v27, v25 :: v_dual_add_nc_u32 v2, v2, v19
	s_delay_alu instid0(VALU_DEP_3) | instskip(SKIP_1) | instid1(VALU_DEP_3)
	v_dual_cndmask_b32 v26, v28, v26 :: v_dual_cndmask_b32 v25, v25, v23
	v_cndmask_b32_e32 v19, v24, v22, vcc_lo
	v_cmp_eq_u32_e64 s5, 0, v2
	s_delay_alu instid0(VALU_DEP_4) | instskip(NEXT) | instid1(VALU_DEP_4)
	v_cndmask_b32_e64 v22, v27, v29, s3
	v_cndmask_b32_e64 v24, v26, v27, s3
	;; [unrolled: 1-line block ×3, first 2 shown]
	v_sub_nc_u32_e32 v27, 32, v2
	v_cndmask_b32_e64 v25, v25, v19, s3
	v_cndmask_b32_e64 v18, v19, v18, s3
	;; [unrolled: 1-line block ×4, first 2 shown]
	s_delay_alu instid0(VALU_DEP_4) | instskip(NEXT) | instid1(VALU_DEP_4)
	v_cndmask_b32_e64 v26, v26, v25, s4
	v_cndmask_b32_e64 v18, v25, v18, s4
	s_delay_alu instid0(VALU_DEP_3) | instskip(NEXT) | instid1(VALU_DEP_3)
	v_alignbit_b32 v28, v24, v22, v27
	v_alignbit_b32 v29, v22, v26, v27
	s_delay_alu instid0(VALU_DEP_3) | instskip(NEXT) | instid1(VALU_DEP_3)
	v_alignbit_b32 v27, v26, v18, v27
	v_cndmask_b32_e64 v2, v28, v24, s5
	s_delay_alu instid0(VALU_DEP_3) | instskip(NEXT) | instid1(VALU_DEP_3)
	v_cndmask_b32_e64 v22, v29, v22, s5
	v_cndmask_b32_e64 v26, v27, v26, s5
	s_delay_alu instid0(VALU_DEP_3) | instskip(NEXT) | instid1(VALU_DEP_3)
	v_bfe_u32 v23, v2, 29, 1
	v_alignbit_b32 v19, v2, v22, 30
	s_delay_alu instid0(VALU_DEP_3) | instskip(SKIP_1) | instid1(VALU_DEP_4)
	v_alignbit_b32 v22, v22, v26, 30
	v_alignbit_b32 v18, v26, v18, 30
	v_sub_nc_u32_e32 v24, 0, v23
	s_delay_alu instid0(VALU_DEP_1) | instskip(SKIP_3) | instid1(VALU_DEP_4)
	v_xor_b32_e32 v25, v19, v24
	v_cmp_ne_u32_e32 vcc_lo, v19, v24
	v_xor_b32_e32 v22, v22, v24
	v_xor_b32_e32 v18, v18, v24
	v_clz_i32_u32_e32 v28, v25
	s_delay_alu instid0(VALU_DEP_1) | instskip(NEXT) | instid1(VALU_DEP_1)
	v_add_nc_u32_e32 v27, 1, v28
	v_cndmask_b32_e32 v19, 33, v27, vcc_lo
	s_delay_alu instid0(VALU_DEP_1) | instskip(NEXT) | instid1(VALU_DEP_1)
	v_sub_nc_u32_e32 v26, 32, v19
	v_alignbit_b32 v24, v25, v22, v26
	v_alignbit_b32 v18, v22, v18, v26
	v_lshrrev_b32_e32 v22, 29, v2
	v_lshrrev_b32_e32 v2, 30, v2
	s_delay_alu instid0(VALU_DEP_3) | instskip(NEXT) | instid1(VALU_DEP_3)
	v_alignbit_b32 v25, v24, v18, 9
	v_lshlrev_b32_e32 v22, 31, v22
	v_alignbit_b32 v24, v19, v24, 9
	s_delay_alu instid0(VALU_DEP_3) | instskip(NEXT) | instid1(VALU_DEP_2)
	v_clz_i32_u32_e32 v26, v25
	v_or_b32_e32 v24, v24, v22
	v_or_b32_e32 v22, 0x33800000, v22
	s_delay_alu instid0(VALU_DEP_3) | instskip(NEXT) | instid1(VALU_DEP_3)
	v_min_u32_e32 v26, 32, v26
	v_xor_b32_e32 v24, 1.0, v24
	s_delay_alu instid0(VALU_DEP_2) | instskip(SKIP_1) | instid1(VALU_DEP_3)
	v_sub_nc_u32_e32 v27, 31, v26
	v_add_lshl_u32 v19, v26, v19, 23
	v_mul_f32_e32 v26, 0x3fc90fda, v24
	s_delay_alu instid0(VALU_DEP_3) | instskip(NEXT) | instid1(VALU_DEP_3)
	v_alignbit_b32 v18, v25, v18, v27
	v_sub_nc_u32_e32 v19, v22, v19
	s_delay_alu instid0(VALU_DEP_2) | instskip(NEXT) | instid1(VALU_DEP_1)
	v_lshrrev_b32_e32 v18, 9, v18
	v_or_b32_e32 v18, v19, v18
	v_add_nc_u32_e32 v19, v23, v2
	v_fma_f32 v22, 0x3fc90fda, v24, -v26
	s_delay_alu instid0(VALU_DEP_1) | instskip(NEXT) | instid1(VALU_DEP_1)
	v_fmac_f32_e32 v22, 0x33a22168, v24
	v_fmac_f32_e32 v22, 0x3fc90fda, v18
	s_delay_alu instid0(VALU_DEP_1)
	v_add_f32_e32 v18, v26, v22
.LBB2_20:                               ;   in Loop: Header=BB2_2 Depth=1
	s_or_saveexec_b32 s3, s14
	v_mul_f32_e64 v2, 0x3f22f983, |v15|
	s_delay_alu instid0(VALU_DEP_1)
	v_rndne_f32_e32 v23, v2
	s_xor_b32 exec_lo, exec_lo, s3
; %bb.21:                               ;   in Loop: Header=BB2_2 Depth=1
	s_delay_alu instid0(VALU_DEP_1) | instskip(SKIP_1) | instid1(VALU_DEP_2)
	v_fma_f32 v18, 0xbfc90fda, v23, |v15|
	v_cvt_i32_f32_e32 v19, v23
	v_fmac_f32_e32 v18, 0xb3a22168, v23
	s_delay_alu instid0(VALU_DEP_1)
	v_fmac_f32_e32 v18, 0xa7c234c4, v23
; %bb.22:                               ;   in Loop: Header=BB2_2 Depth=1
	s_or_b32 exec_lo, exec_lo, s3
                                        ; implicit-def: $vgpr22
                                        ; implicit-def: $vgpr2
	s_and_saveexec_b32 s3, s13
	s_delay_alu instid0(SALU_CYCLE_1)
	s_xor_b32 s13, exec_lo, s3
	s_cbranch_execz .LBB2_24
; %bb.23:                               ;   in Loop: Header=BB2_2 Depth=1
	v_mad_u64_u32 v[22:23], null, 0xfe5163ab, v20, 0
	v_cmp_lt_u32_e32 vcc_lo, 63, v21
	v_cndmask_b32_e64 v28, 0, 0xffffffc0, vcc_lo
	s_delay_alu instid0(VALU_DEP_1) | instskip(NEXT) | instid1(VALU_DEP_1)
	v_dual_mov_b32 v2, v23 :: v_dual_add_nc_u32 v21, v28, v21
	v_mad_u64_u32 v[23:24], null, 0x3c439041, v20, v[2:3]
	s_delay_alu instid0(VALU_DEP_2) | instskip(NEXT) | instid1(VALU_DEP_1)
	v_cmp_lt_u32_e64 s3, 31, v21
	v_cndmask_b32_e64 v29, 0, 0xffffffe0, s3
	s_delay_alu instid0(VALU_DEP_1) | instskip(NEXT) | instid1(VALU_DEP_1)
	v_dual_mov_b32 v2, v24 :: v_dual_add_nc_u32 v21, v29, v21
	v_mad_u64_u32 v[24:25], null, 0xdb629599, v20, v[2:3]
	s_delay_alu instid0(VALU_DEP_2) | instskip(NEXT) | instid1(VALU_DEP_2)
	v_cmp_lt_u32_e64 s4, 31, v21
	v_mov_b32_e32 v2, v25
	s_delay_alu instid0(VALU_DEP_3) | instskip(NEXT) | instid1(VALU_DEP_2)
	v_cndmask_b32_e32 v22, v24, v22, vcc_lo
	v_mad_u64_u32 v[25:26], null, 0xf534ddc0, v20, v[2:3]
	s_delay_alu instid0(VALU_DEP_1) | instskip(NEXT) | instid1(VALU_DEP_1)
	v_mov_b32_e32 v2, v26
	v_mad_u64_u32 v[26:27], null, 0xfc2757d1, v20, v[2:3]
	s_delay_alu instid0(VALU_DEP_1) | instskip(NEXT) | instid1(VALU_DEP_1)
	v_mov_b32_e32 v2, v27
	;; [unrolled: 3-line block ×3, first 2 shown]
	v_mad_u64_u32 v[28:29], null, 0xa2f9836e, v20, v[2:3]
	v_cndmask_b32_e64 v2, 0, 0xffffffe0, s4
	s_delay_alu instid0(VALU_DEP_4) | instskip(NEXT) | instid1(VALU_DEP_2)
	v_cndmask_b32_e32 v20, v27, v25, vcc_lo
	v_add_nc_u32_e32 v2, v2, v21
	s_delay_alu instid0(VALU_DEP_4) | instskip(SKIP_1) | instid1(VALU_DEP_3)
	v_dual_cndmask_b32 v28, v28, v26 :: v_dual_cndmask_b32 v27, v29, v27
	v_dual_cndmask_b32 v26, v26, v24 :: v_dual_cndmask_b32 v21, v25, v23
	v_cmp_eq_u32_e64 s5, 0, v2
	s_delay_alu instid0(VALU_DEP_3) | instskip(NEXT) | instid1(VALU_DEP_4)
	v_cndmask_b32_e64 v23, v28, v20, s3
	v_cndmask_b32_e64 v25, v27, v28, s3
	s_delay_alu instid0(VALU_DEP_4)
	v_cndmask_b32_e64 v20, v20, v26, s3
	v_sub_nc_u32_e32 v27, 32, v2
	v_cndmask_b32_e64 v26, v26, v21, s3
	v_cndmask_b32_e64 v21, v21, v22, s3
	;; [unrolled: 1-line block ×4, first 2 shown]
	s_delay_alu instid0(VALU_DEP_4) | instskip(NEXT) | instid1(VALU_DEP_4)
	v_cndmask_b32_e64 v20, v20, v26, s4
	v_cndmask_b32_e64 v21, v26, v21, s4
	s_delay_alu instid0(VALU_DEP_3) | instskip(NEXT) | instid1(VALU_DEP_3)
	v_alignbit_b32 v28, v25, v23, v27
	v_alignbit_b32 v29, v23, v20, v27
	s_delay_alu instid0(VALU_DEP_3) | instskip(NEXT) | instid1(VALU_DEP_3)
	v_alignbit_b32 v27, v20, v21, v27
	v_cndmask_b32_e64 v2, v28, v25, s5
	s_delay_alu instid0(VALU_DEP_3) | instskip(NEXT) | instid1(VALU_DEP_3)
	v_cndmask_b32_e64 v23, v29, v23, s5
	v_cndmask_b32_e64 v20, v27, v20, s5
	s_delay_alu instid0(VALU_DEP_3) | instskip(NEXT) | instid1(VALU_DEP_3)
	v_bfe_u32 v24, v2, 29, 1
	v_alignbit_b32 v22, v2, v23, 30
	s_delay_alu instid0(VALU_DEP_3) | instskip(SKIP_1) | instid1(VALU_DEP_4)
	v_alignbit_b32 v23, v23, v20, 30
	v_alignbit_b32 v20, v20, v21, 30
	v_sub_nc_u32_e32 v25, 0, v24
	s_delay_alu instid0(VALU_DEP_1) | instskip(SKIP_3) | instid1(VALU_DEP_4)
	v_xor_b32_e32 v26, v22, v25
	v_cmp_ne_u32_e32 vcc_lo, v22, v25
	v_xor_b32_e32 v21, v23, v25
	v_xor_b32_e32 v20, v20, v25
	v_clz_i32_u32_e32 v28, v26
	s_delay_alu instid0(VALU_DEP_1) | instskip(NEXT) | instid1(VALU_DEP_1)
	v_add_nc_u32_e32 v27, 1, v28
	v_cndmask_b32_e32 v22, 33, v27, vcc_lo
	s_delay_alu instid0(VALU_DEP_1) | instskip(NEXT) | instid1(VALU_DEP_1)
	v_sub_nc_u32_e32 v23, 32, v22
	v_alignbit_b32 v25, v26, v21, v23
	v_alignbit_b32 v20, v21, v20, v23
	v_lshrrev_b32_e32 v21, 29, v2
	s_delay_alu instid0(VALU_DEP_2) | instskip(NEXT) | instid1(VALU_DEP_2)
	v_alignbit_b32 v23, v25, v20, 9
	v_lshlrev_b32_e32 v21, 31, v21
	v_alignbit_b32 v25, v22, v25, 9
	s_delay_alu instid0(VALU_DEP_3) | instskip(NEXT) | instid1(VALU_DEP_2)
	v_clz_i32_u32_e32 v26, v23
	v_or_b32_e32 v25, v25, v21
	v_or_b32_e32 v21, 0x33800000, v21
	s_delay_alu instid0(VALU_DEP_3) | instskip(NEXT) | instid1(VALU_DEP_3)
	v_min_u32_e32 v26, 32, v26
	v_xor_b32_e32 v25, 1.0, v25
	s_delay_alu instid0(VALU_DEP_2) | instskip(SKIP_1) | instid1(VALU_DEP_3)
	v_sub_nc_u32_e32 v27, 31, v26
	v_add_lshl_u32 v22, v26, v22, 23
	v_mul_f32_e32 v26, 0x3fc90fda, v25
	s_delay_alu instid0(VALU_DEP_3) | instskip(NEXT) | instid1(VALU_DEP_3)
	v_alignbit_b32 v20, v23, v20, v27
	v_sub_nc_u32_e32 v21, v21, v22
	s_delay_alu instid0(VALU_DEP_3) | instskip(NEXT) | instid1(VALU_DEP_3)
	v_fma_f32 v22, 0x3fc90fda, v25, -v26
                                        ; implicit-def: $vgpr23
	v_lshrrev_b32_e32 v20, 9, v20
	s_delay_alu instid0(VALU_DEP_2) | instskip(NEXT) | instid1(VALU_DEP_2)
	v_fmac_f32_e32 v22, 0x33a22168, v25
	v_or_b32_e32 v20, v21, v20
	s_delay_alu instid0(VALU_DEP_1) | instskip(SKIP_1) | instid1(VALU_DEP_2)
	v_fmac_f32_e32 v22, 0x3fc90fda, v20
	v_lshrrev_b32_e32 v20, 30, v2
	v_add_f32_e32 v2, v26, v22
	s_delay_alu instid0(VALU_DEP_2)
	v_add_nc_u32_e32 v22, v24, v20
	s_and_not1_saveexec_b32 s3, s13
	s_cbranch_execz .LBB2_1
	s_branch .LBB2_25
.LBB2_24:                               ;   in Loop: Header=BB2_2 Depth=1
	s_and_not1_saveexec_b32 s3, s13
	s_cbranch_execz .LBB2_1
.LBB2_25:                               ;   in Loop: Header=BB2_2 Depth=1
	v_fma_f32 v2, 0xbfc90fda, v23, |v15|
	v_cvt_i32_f32_e32 v22, v23
	s_delay_alu instid0(VALU_DEP_2) | instskip(NEXT) | instid1(VALU_DEP_1)
	v_fmac_f32_e32 v2, 0xb3a22168, v23
	v_fmac_f32_e32 v2, 0xa7c234c4, v23
	s_branch .LBB2_1
.LBB2_26:
	s_clause 0xb
	scratch_load_b128 v[0:3], off, off
	scratch_load_b128 v[4:7], off, off offset:16
	scratch_load_b128 v[8:11], off, off offset:32
	;; [unrolled: 1-line block ×11, first 2 shown]
	s_clause 0x1
	s_load_b64 s[4:5], s[0:1], 0x0
	s_load_b128 s[20:23], s[0:1], 0x48
	v_mov_b32_e32 v53, 0
	s_mov_b32 s25, 0
	s_delay_alu instid0(SALU_CYCLE_1)
	s_mov_b32 s24, s25
	s_waitcnt lgkmcnt(0)
	s_max_i32 s28, s5, 1
	s_max_i32 s29, s4, 1
	s_add_u32 s16, s16, 8
	s_addc_u32 s17, s17, 0
.LBB2_27:                               ; =>This Loop Header: Depth=1
                                        ;     Child Loop BB2_28 Depth 2
	s_lshl_b64 s[0:1], s[24:25], 4
	s_mov_b32 s30, s28
	s_add_u32 s0, s18, s0
	s_addc_u32 s1, s19, s1
	s_mov_b64 s[26:27], s[16:17]
	global_load_b128 v[69:72], v53, s[0:1]
	s_waitcnt vmcnt(0)
	v_ashrrev_i32_e32 v49, 31, v72
	v_fma_f32 v59, v69, v4, v7
	v_mov_b32_e32 v48, v72
	v_fma_f32 v58, v69, v0, v3
	v_fma_f32 v60, v69, v8, v11
	;; [unrolled: 1-line block ×3, first 2 shown]
	v_fmac_f32_e32 v59, v70, v5
	v_lshlrev_b64 v[48:49], 4, v[48:49]
	v_fmac_f32_e32 v58, v70, v1
	v_fma_f32 v62, v69, v16, v19
	v_fma_f32 v63, v69, v20, v23
	v_fmac_f32_e32 v59, v71, v6
	v_fmac_f32_e32 v61, v70, v13
	v_add_co_u32 v48, vcc_lo, s22, v48
	v_add_co_ci_u32_e32 v49, vcc_lo, s23, v49, vcc_lo
	v_fmac_f32_e32 v58, v71, v2
	s_delay_alu instid0(VALU_DEP_4)
	v_dual_fmac_f32 v60, v70, v9 :: v_dual_fmac_f32 v61, v71, v14
	global_load_b128 v[48:51], v[48:49], off
	v_fma_f32 v64, v69, v24, v27
	v_dual_fmac_f32 v63, v70, v21 :: v_dual_fmac_f32 v60, v71, v10
	v_fmac_f32_e32 v62, v70, v17
	v_fma_f32 v65, v69, v28, v31
	v_fma_f32 v66, v69, v32, v35
	s_delay_alu instid0(VALU_DEP_4) | instskip(SKIP_1) | instid1(VALU_DEP_4)
	v_fmac_f32_e32 v63, v71, v22
	v_fma_f32 v67, v69, v36, v39
	v_dual_fmac_f32 v62, v71, v18 :: v_dual_fmac_f32 v65, v70, v29
	v_fmac_f32_e32 v64, v70, v25
	v_fma_f32 v68, v69, v40, v43
	v_fma_f32 v69, v69, v44, v47
	v_fmac_f32_e32 v67, v70, v37
	v_fmac_f32_e32 v65, v71, v30
	;; [unrolled: 1-line block ×3, first 2 shown]
	s_delay_alu instid0(VALU_DEP_3) | instskip(NEXT) | instid1(VALU_DEP_1)
	v_dual_fmac_f32 v66, v70, v33 :: v_dual_fmac_f32 v67, v71, v38
	v_dual_fmac_f32 v69, v70, v45 :: v_dual_fmac_f32 v66, v71, v34
	s_delay_alu instid0(VALU_DEP_1) | instskip(NEXT) | instid1(VALU_DEP_1)
	v_dual_fmac_f32 v68, v70, v41 :: v_dual_fmac_f32 v69, v71, v46
	v_fmac_f32_e32 v68, v71, v42
	s_waitcnt vmcnt(0)
	v_cmp_gt_f32_e64 s0, 0, v50
	v_cmp_lt_f32_e64 s1, 0, v50
	v_cmp_eq_u32_e64 s3, 0x46, v48
	v_cmp_eq_u32_e64 s4, 0x45, v48
	s_delay_alu instid0(VALU_DEP_4)
	v_cndmask_b32_e64 v48, 1.0, 0x40b00000, s0
	v_cndmask_b32_e64 v70, 0xff7fffff, 1.0, s0
.LBB2_28:                               ;   Parent Loop BB2_27 Depth=1
                                        ; =>  This Inner Loop Header: Depth=2
	global_load_b128 v[71:74], v53, s[26:27] offset:-8
	s_waitcnt vmcnt(0)
	v_ashrrev_i32_e32 v75, 31, v74
	v_dual_sub_f32 v78, v58, v71 :: v_dual_sub_f32 v79, v59, v72
	v_dual_sub_f32 v82, v62, v72 :: v_dual_sub_f32 v83, v63, v73
	s_delay_alu instid0(VALU_DEP_3) | instskip(SKIP_3) | instid1(VALU_DEP_4)
	v_lshlrev_b64 v[74:75], 4, v[74:75]
	v_dual_sub_f32 v84, v64, v71 :: v_dual_sub_f32 v85, v65, v72
	v_sub_f32_e32 v72, v68, v72
	v_dual_sub_f32 v80, v60, v73 :: v_dual_sub_f32 v81, v61, v71
	v_add_co_u32 v74, vcc_lo, s22, v74
	v_add_co_ci_u32_e32 v75, vcc_lo, s23, v75, vcc_lo
	v_dual_sub_f32 v86, v66, v73 :: v_dual_sub_f32 v71, v67, v71
	v_sub_f32_e32 v73, v69, v73
	global_load_b128 v[74:77], v[74:75], off
	v_dual_mul_f32 v79, v79, v79 :: v_dual_mul_f32 v82, v82, v82
	v_dual_mul_f32 v85, v85, v85 :: v_dual_mul_f32 v72, v72, v72
	s_delay_alu instid0(VALU_DEP_2) | instskip(NEXT) | instid1(VALU_DEP_2)
	v_dual_fmac_f32 v79, v78, v78 :: v_dual_fmac_f32 v82, v81, v81
	v_dual_fmac_f32 v85, v84, v84 :: v_dual_fmac_f32 v72, v71, v71
	s_delay_alu instid0(VALU_DEP_2) | instskip(NEXT) | instid1(VALU_DEP_2)
	v_dual_fmac_f32 v79, v80, v80 :: v_dual_fmac_f32 v82, v83, v83
	v_dual_fmac_f32 v85, v86, v86 :: v_dual_fmac_f32 v72, v73, v73
	s_delay_alu instid0(VALU_DEP_2) | instskip(NEXT) | instid1(VALU_DEP_2)
	v_mul_f32_e32 v71, 0x4f800000, v79
	v_dual_mul_f32 v73, 0x4f800000, v82 :: v_dual_mul_f32 v78, 0x4f800000, v85
	s_delay_alu instid0(VALU_DEP_3) | instskip(SKIP_4) | instid1(VALU_DEP_4)
	v_mul_f32_e32 v80, 0x4f800000, v72
	v_cmp_gt_f32_e64 s5, 0xf800000, v85
	v_cmp_gt_f32_e64 s6, 0xf800000, v72
	;; [unrolled: 1-line block ×3, first 2 shown]
	v_cmp_gt_f32_e32 vcc_lo, 0xf800000, v82
	v_cndmask_b32_e64 v78, v85, v78, s5
	s_delay_alu instid0(VALU_DEP_4) | instskip(NEXT) | instid1(VALU_DEP_4)
	v_cndmask_b32_e64 v72, v72, v80, s6
	v_cndmask_b32_e64 v71, v79, v71, s7
	s_delay_alu instid0(VALU_DEP_3) | instskip(NEXT) | instid1(VALU_DEP_1)
	v_sqrt_f32_e32 v81, v78
	v_sqrt_f32_e32 v79, v71
	v_cndmask_b32_e32 v73, v82, v73, vcc_lo
	v_sqrt_f32_e32 v82, v72
	s_delay_alu instid0(TRANS32_DEP_3)
	v_add_nc_u32_e32 v88, 1, v81
	s_waitcnt_depctr 0xfff
	v_add_nc_u32_e32 v83, -1, v79
	v_add_nc_u32_e32 v84, 1, v79
	v_add_nc_u32_e32 v90, 1, v82
	v_sqrt_f32_e32 v80, v73
	s_delay_alu instid0(VALU_DEP_3) | instskip(NEXT) | instid1(VALU_DEP_3)
	v_fma_f32 v91, -v83, v79, v71
	v_fma_f32 v92, -v84, v79, v71
	s_delay_alu instid0(VALU_DEP_3) | instskip(NEXT) | instid1(VALU_DEP_3)
	v_fma_f32 v98, -v90, v82, v72
	v_cmp_ge_f32_e64 s8, 0, v91
	s_delay_alu instid0(VALU_DEP_3) | instskip(NEXT) | instid1(VALU_DEP_2)
	v_cmp_lt_f32_e64 s11, 0, v92
	v_cndmask_b32_e64 v79, v79, v83, s8
	s_delay_alu instid0(VALU_DEP_1)
	v_cndmask_b32_e64 v79, v79, v84, s11
	s_delay_alu instid0(TRANS32_DEP_1) | instid1(VALU_DEP_1)
	v_dual_mul_f32 v83, 0x37800000, v79 :: v_dual_add_nc_u32 v86, 1, v80
	s_delay_alu instid0(VALU_DEP_1) | instskip(NEXT) | instid1(VALU_DEP_2)
	v_fma_f32 v94, -v86, v80, v73
	v_cndmask_b32_e64 v79, v79, v83, s7
	v_cmp_class_f32_e64 s7, v71, 0x260
	s_delay_alu instid0(VALU_DEP_1)
	v_cndmask_b32_e64 v71, v79, v71, s7
	s_waitcnt vmcnt(0)
	v_add_f32_e32 v75, v49, v75
	v_add_nc_u32_e32 v89, -1, v82
	v_fma_f32 v96, -v88, v81, v78
	v_cmp_neq_f32_e64 s7, 0, v76
	s_delay_alu instid0(VALU_DEP_4) | instskip(NEXT) | instid1(VALU_DEP_4)
	v_div_scale_f32 v79, null, v75, v75, 1.0
	v_fma_f32 v97, -v89, v82, v72
	s_delay_alu instid0(VALU_DEP_1) | instskip(NEXT) | instid1(VALU_DEP_1)
	v_cmp_ge_f32_e64 s10, 0, v97
	v_cndmask_b32_e64 v82, v82, v89, s10
	v_cmp_lt_f32_e64 s10, 0, v98
	s_delay_alu instid0(VALU_DEP_1) | instskip(SKIP_2) | instid1(VALU_DEP_1)
	v_cndmask_b32_e64 v82, v82, v90, s10
	v_add_nc_u32_e32 v85, -1, v80
	v_rcp_f32_e32 v90, v79
	v_fma_f32 v93, -v85, v80, v73
	s_delay_alu instid0(VALU_DEP_1) | instskip(SKIP_4) | instid1(VALU_DEP_3)
	v_cmp_ge_f32_e64 s8, 0, v93
	s_waitcnt_depctr 0xfff
	v_fma_f32 v105, -v79, v90, 1.0
	v_cndmask_b32_e64 v80, v80, v85, s8
	v_cmp_lt_f32_e64 s8, 0, v94
	v_fmac_f32_e32 v90, v105, v90
	s_delay_alu instid0(VALU_DEP_2) | instskip(SKIP_2) | instid1(VALU_DEP_3)
	v_cndmask_b32_e64 v80, v80, v86, s8
	v_mul_f32_e32 v86, 0x37800000, v82
	v_cmp_gt_f32_e64 s8, 0, v76
	v_dual_mul_f32 v84, 0x37800000, v80 :: v_dual_add_nc_u32 v87, -1, v81
	s_delay_alu instid0(VALU_DEP_3) | instskip(SKIP_1) | instid1(VALU_DEP_3)
	v_cndmask_b32_e64 v82, v82, v86, s6
	v_cmp_class_f32_e64 s6, v72, 0x260
	v_cndmask_b32_e32 v80, v80, v84, vcc_lo
	s_delay_alu instid0(VALU_DEP_4) | instskip(SKIP_1) | instid1(VALU_DEP_4)
	v_fma_f32 v95, -v87, v81, v78
	v_cmp_class_f32_e64 vcc_lo, v73, 0x260
	v_cndmask_b32_e64 v72, v82, v72, s6
	v_cmp_lt_f32_e64 s6, 0, v76
	v_mul_f32_e32 v77, v51, v77
	v_cmp_ge_f32_e64 s9, 0, v95
	v_cndmask_b32_e32 v73, v80, v73, vcc_lo
	v_cmp_eq_u32_e32 vcc_lo, 0x46, v74
	s_and_b32 s6, s6, s0
	s_delay_alu instid0(VALU_DEP_3)
	v_cndmask_b32_e64 v81, v81, v87, s9
	v_cmp_lt_f32_e64 s9, 0, v96
	s_and_b32 s10, vcc_lo, s3
	v_sub_f32_e32 v86, v73, v75
	v_cndmask_b32_e64 v82, v50, -v50, s6
	v_cndmask_b32_e64 v89, 0.5, 0x3e800000, s10
	v_cndmask_b32_e64 v81, v81, v88, s9
	v_sub_f32_e32 v88, v72, v75
	v_div_scale_f32 v80, s9, 1.0, v75, 1.0
	s_delay_alu instid0(VALU_DEP_4) | instskip(NEXT) | instid1(VALU_DEP_4)
	v_fma_f32 v99, -v89, v86, 1.0
	v_mul_f32_e32 v85, 0x37800000, v81
	s_delay_alu instid0(VALU_DEP_4) | instskip(NEXT) | instid1(VALU_DEP_2)
	v_cmp_gt_f32_e64 s14, 0, v88
	v_cndmask_b32_e64 v81, v81, v85, s5
	v_cmp_class_f32_e64 s5, v78, 0x260
	s_delay_alu instid0(VALU_DEP_3) | instskip(NEXT) | instid1(VALU_DEP_2)
	v_cndmask_b32_e64 v97, 0, 0x42980000, s14
	v_cndmask_b32_e64 v78, v81, v78, s5
	v_cndmask_b32_e64 v81, 2.0, 4.0, s10
	v_cmp_eq_u32_e64 s5, 0x45, v74
	v_cndmask_b32_e64 v74, v70, v48, s8
	s_and_b32 s8, s8, s1
	v_cmp_gt_f32_e64 s10, 0, v86
	v_cmp_lt_f32_e64 s11, v86, v81
	v_cndmask_b32_e64 v76, v76, -v76, s8
	v_sub_f32_e32 v85, v71, v75
	v_cmp_lt_f32_e64 s15, v88, v81
	v_div_scale_f32 v83, null, v74, v74, 1.0
	s_delay_alu instid0(VALU_DEP_4)
	v_add_f32_e32 v76, v76, v82
	v_cndmask_b32_e64 v94, 0, 1.0, s11
	v_cmp_lt_f32_e64 s11, v86, v74
	v_cmp_lt_f32_e32 vcc_lo, v85, v81
	v_rcp_f32_e32 v91, v83
	v_cmp_gt_f32_e64 s8, 0, v85
	v_fma_f32 v98, -v89, v85, 1.0
	s_and_b32 s11, s7, s11
	v_cndmask_b32_e64 v92, 0, 1.0, vcc_lo
	v_cndmask_b32_e64 v102, 0, 1.0, s11
	v_sub_f32_e32 v87, v78, v75
	v_cmp_lt_f32_e32 vcc_lo, v85, v74
	v_cndmask_b32_e64 v98, v98, 1.0, s8
	v_cndmask_b32_e64 v99, v99, 1.0, s10
	v_mul_f32_e32 v102, v76, v102
	v_cmp_lt_f32_e64 s13, v87, v81
	v_cndmask_b32_e64 v81, 0, 1.0, s15
	v_cmp_lt_f32_e64 s15, v88, v74
	v_cmp_gt_f32_e64 s12, 0, v87
	v_fma_f32 v100, -v89, v87, 1.0
	v_cndmask_b32_e64 v96, 0, 1.0, s13
	v_cmp_lt_f32_e64 s13, v87, v74
	v_fma_f32 v89, -v89, v88, 1.0
	s_and_b32 s31, s7, vcc_lo
	v_cndmask_b32_e64 v100, v100, 1.0, s12
	v_cndmask_b32_e64 v101, 0, 1.0, s31
	s_and_b32 s11, s7, s13
	s_and_b32 s7, s7, s15
	v_cndmask_b32_e64 v103, 0, 1.0, s11
	v_cndmask_b32_e64 v104, 0, 1.0, s7
	v_cndmask_b32_e64 v89, v89, 1.0, s14
	v_fma_f32 v106, -v83, v91, 1.0
	v_mul_f32_e32 v101, v76, v101
	v_mul_f32_e32 v92, v92, v98
	v_mul_f32_e32 v94, v94, v99
	v_mul_f32_e32 v103, v76, v103
	v_dual_mul_f32 v76, v76, v104 :: v_dual_mul_f32 v81, v81, v89
	v_mul_f32_e32 v96, v96, v100
	v_div_scale_f32 v84, s6, 1.0, v74, 1.0
	v_fmac_f32_e32 v91, v106, v91
	v_mul_f32_e32 v89, v77, v92
	v_mul_f32_e32 v92, v77, v94
	;; [unrolled: 1-line block ×6, first 2 shown]
	s_mov_b32 vcc_lo, s9
	v_cndmask_b32_e64 v82, 0, 0x42980000, s8
	v_cndmask_b32_e64 v93, 0, 0x42980000, s10
	v_fma_f32 v98, -v79, v81, v80
	v_fma_f32 v99, -v83, v96, v84
	v_cndmask_b32_e64 v95, 0, 0x42980000, s12
	s_or_b32 s5, s5, s4
	s_add_u32 s26, s26, 16
	s_delay_alu instid0(VALU_DEP_2) | instskip(SKIP_3) | instid1(VALU_DEP_4)
	v_dual_fmac_f32 v81, v98, v90 :: v_dual_fmac_f32 v96, v99, v91
	v_cndmask_b32_e64 v89, v89, -|v89|, s5
	v_cndmask_b32_e64 v92, v92, -|v92|, s5
	;; [unrolled: 1-line block ×3, first 2 shown]
	v_fma_f32 v79, -v79, v81, v80
	v_fma_f32 v80, -v83, v96, v84
	v_cndmask_b32_e64 v77, v77, -|v77|, s5
	s_addc_u32 s27, s27, 0
	s_add_i32 s30, s30, -1
	v_div_fmas_f32 v79, v79, v90, v81
	s_mov_b32 vcc_lo, s6
	s_cmp_lg_u32 s30, 0
	v_div_fmas_f32 v80, v80, v91, v96
	s_delay_alu instid0(VALU_DEP_2) | instskip(NEXT) | instid1(VALU_DEP_2)
	v_div_fixup_f32 v75, v79, v75, 1.0
	v_div_fixup_f32 v74, v80, v74, 1.0
	s_delay_alu instid0(VALU_DEP_2)
	v_fma_f32 v71, -v75, v71, 1.0
	v_fma_f32 v73, -v75, v73, 1.0
	;; [unrolled: 1-line block ×8, first 2 shown]
	v_dual_fmac_f32 v56, v71, v82 :: v_dual_fmac_f32 v57, v73, v93
	v_dual_fmac_f32 v55, v78, v95 :: v_dual_fmac_f32 v54, v72, v97
	v_cndmask_b32_e64 v71, v75, 1.0, s8
	v_cndmask_b32_e64 v72, v79, 1.0, s10
	;; [unrolled: 1-line block ×4, first 2 shown]
	v_dual_fmac_f32 v56, 0x42340000, v89 :: v_dual_fmac_f32 v57, 0x42340000, v92
	v_dual_fmac_f32 v55, 0x42340000, v94 :: v_dual_fmac_f32 v54, 0x42340000, v77
	s_delay_alu instid0(VALU_DEP_2) | instskip(NEXT) | instid1(VALU_DEP_2)
	v_dual_fmac_f32 v56, v71, v101 :: v_dual_fmac_f32 v57, v72, v102
	v_dual_fmac_f32 v55, v73, v103 :: v_dual_fmac_f32 v54, v74, v76
	s_cbranch_scc1 .LBB2_28
; %bb.29:                               ;   in Loop: Header=BB2_27 Depth=1
	s_add_i32 s24, s24, 1
	s_delay_alu instid0(SALU_CYCLE_1)
	s_cmp_lg_u32 s24, s29
	s_cbranch_scc1 .LBB2_27
; %bb.30:
	s_and_saveexec_b32 s0, s2
	s_cbranch_execz .LBB2_32
; %bb.31:
	v_dual_mov_b32 v53, 0 :: v_dual_mul_f32 v8, 0.5, v56
	v_dual_mul_f32 v9, 0.5, v57 :: v_dual_mul_f32 v10, 0.5, v55
	v_mul_f32_e32 v11, 0.5, v54
	s_delay_alu instid0(VALU_DEP_3) | instskip(SKIP_1) | instid1(VALU_DEP_1)
	v_lshlrev_b64 v[0:1], 2, v[52:53]
	v_add_nc_u32_e32 v52, s33, v52
	v_lshlrev_b64 v[2:3], 2, v[52:53]
	v_add_nc_u32_e32 v52, s33, v52
	s_delay_alu instid0(VALU_DEP_4) | instskip(SKIP_1) | instid1(VALU_DEP_3)
	v_add_co_u32 v0, vcc_lo, s20, v0
	v_add_co_ci_u32_e32 v1, vcc_lo, s21, v1, vcc_lo
	v_lshlrev_b64 v[4:5], 2, v[52:53]
	v_add_nc_u32_e32 v52, s33, v52
	v_add_co_u32 v2, vcc_lo, s20, v2
	v_add_co_ci_u32_e32 v3, vcc_lo, s21, v3, vcc_lo
	s_delay_alu instid0(VALU_DEP_3) | instskip(SKIP_2) | instid1(VALU_DEP_3)
	v_lshlrev_b64 v[6:7], 2, v[52:53]
	v_add_co_u32 v4, vcc_lo, s20, v4
	v_add_co_ci_u32_e32 v5, vcc_lo, s21, v5, vcc_lo
	v_add_co_u32 v6, vcc_lo, s20, v6
	s_delay_alu instid0(VALU_DEP_4)
	v_add_co_ci_u32_e32 v7, vcc_lo, s21, v7, vcc_lo
	s_clause 0x3
	global_store_b32 v[0:1], v8, off
	global_store_b32 v[2:3], v9, off
	;; [unrolled: 1-line block ×4, first 2 shown]
.LBB2_32:
	s_endpgm
	.section	.rodata,"a",@progbits
	.p2align	6, 0x0
	.amdhsa_kernel _ZL11fasten_mainILm4EEviiPK4AtomS2_PKfS4_S4_S4_S4_S4_PfPK8FFParamsi
		.amdhsa_group_segment_fixed_size 0
		.amdhsa_private_segment_fixed_size 208
		.amdhsa_kernarg_size 352
		.amdhsa_user_sgpr_count 15
		.amdhsa_user_sgpr_dispatch_ptr 0
		.amdhsa_user_sgpr_queue_ptr 0
		.amdhsa_user_sgpr_kernarg_segment_ptr 1
		.amdhsa_user_sgpr_dispatch_id 0
		.amdhsa_user_sgpr_private_segment_size 0
		.amdhsa_wavefront_size32 1
		.amdhsa_uses_dynamic_stack 0
		.amdhsa_enable_private_segment 1
		.amdhsa_system_sgpr_workgroup_id_x 1
		.amdhsa_system_sgpr_workgroup_id_y 0
		.amdhsa_system_sgpr_workgroup_id_z 0
		.amdhsa_system_sgpr_workgroup_info 0
		.amdhsa_system_vgpr_workitem_id 0
		.amdhsa_next_free_vgpr 107
		.amdhsa_next_free_sgpr 34
		.amdhsa_reserve_vcc 1
		.amdhsa_float_round_mode_32 0
		.amdhsa_float_round_mode_16_64 0
		.amdhsa_float_denorm_mode_32 3
		.amdhsa_float_denorm_mode_16_64 3
		.amdhsa_dx10_clamp 1
		.amdhsa_ieee_mode 1
		.amdhsa_fp16_overflow 0
		.amdhsa_workgroup_processor_mode 1
		.amdhsa_memory_ordered 1
		.amdhsa_forward_progress 0
		.amdhsa_shared_vgpr_count 0
		.amdhsa_exception_fp_ieee_invalid_op 0
		.amdhsa_exception_fp_denorm_src 0
		.amdhsa_exception_fp_ieee_div_zero 0
		.amdhsa_exception_fp_ieee_overflow 0
		.amdhsa_exception_fp_ieee_underflow 0
		.amdhsa_exception_fp_ieee_inexact 0
		.amdhsa_exception_int_div_zero 0
	.end_amdhsa_kernel
	.section	.text._ZL11fasten_mainILm4EEviiPK4AtomS2_PKfS4_S4_S4_S4_S4_PfPK8FFParamsi,"axG",@progbits,_ZL11fasten_mainILm4EEviiPK4AtomS2_PKfS4_S4_S4_S4_S4_PfPK8FFParamsi,comdat
.Lfunc_end2:
	.size	_ZL11fasten_mainILm4EEviiPK4AtomS2_PKfS4_S4_S4_S4_S4_PfPK8FFParamsi, .Lfunc_end2-_ZL11fasten_mainILm4EEviiPK4AtomS2_PKfS4_S4_S4_S4_S4_PfPK8FFParamsi
                                        ; -- End function
	.section	.AMDGPU.csdata,"",@progbits
; Kernel info:
; codeLenInByte = 8076
; NumSgprs: 36
; NumVgprs: 107
; ScratchSize: 208
; MemoryBound: 0
; FloatMode: 240
; IeeeMode: 1
; LDSByteSize: 0 bytes/workgroup (compile time only)
; SGPRBlocks: 4
; VGPRBlocks: 13
; NumSGPRsForWavesPerEU: 36
; NumVGPRsForWavesPerEU: 107
; Occupancy: 12
; WaveLimiterHint : 1
; COMPUTE_PGM_RSRC2:SCRATCH_EN: 1
; COMPUTE_PGM_RSRC2:USER_SGPR: 15
; COMPUTE_PGM_RSRC2:TRAP_HANDLER: 0
; COMPUTE_PGM_RSRC2:TGID_X_EN: 1
; COMPUTE_PGM_RSRC2:TGID_Y_EN: 0
; COMPUTE_PGM_RSRC2:TGID_Z_EN: 0
; COMPUTE_PGM_RSRC2:TIDIG_COMP_CNT: 0
	.section	.text._ZL11fasten_mainILm8EEviiPK4AtomS2_PKfS4_S4_S4_S4_S4_PfPK8FFParamsi,"axG",@progbits,_ZL11fasten_mainILm8EEviiPK4AtomS2_PKfS4_S4_S4_S4_S4_PfPK8FFParamsi,comdat
	.globl	_ZL11fasten_mainILm8EEviiPK4AtomS2_PKfS4_S4_S4_S4_S4_PfPK8FFParamsi ; -- Begin function _ZL11fasten_mainILm8EEviiPK4AtomS2_PKfS4_S4_S4_S4_S4_PfPK8FFParamsi
	.p2align	8
	.type	_ZL11fasten_mainILm8EEviiPK4AtomS2_PKfS4_S4_S4_S4_S4_PfPK8FFParamsi,@function
_ZL11fasten_mainILm8EEviiPK4AtomS2_PKfS4_S4_S4_S4_S4_PfPK8FFParamsi: ; @_ZL11fasten_mainILm8EEviiPK4AtomS2_PKfS4_S4_S4_S4_S4_PfPK8FFParamsi
; %bb.0:
	s_clause 0x1
	s_load_b32 s2, s[0:1], 0x6c
	s_load_b32 s3, s[0:1], 0x58
	v_mov_b32_e32 v11, 0
	s_mov_b32 s25, 0
	s_mov_b64 s[6:7], 0
	s_mov_b32 s27, 0x7fffff
	s_mov_b32 s28, 0xb94c1982
	;; [unrolled: 1-line block ×3, first 2 shown]
	s_waitcnt lgkmcnt(0)
	s_and_b32 s24, s2, 0xffff
	s_add_i32 s4, s3, -8
	s_mul_i32 s15, s15, s24
	s_lshl_b32 s26, s24, 2
	v_lshl_add_u32 v112, s15, 3, v0
	s_load_b512 s[8:23], s[0:1], 0x8
	s_delay_alu instid0(VALU_DEP_1) | instskip(NEXT) | instid1(VALU_DEP_1)
	v_cmp_gt_i32_e64 s2, s3, v112
	v_cndmask_b32_e64 v0, s4, v112, s2
	s_delay_alu instid0(VALU_DEP_1) | instskip(NEXT) | instid1(VALU_DEP_1)
	v_ashrrev_i32_e32 v1, 31, v0
	v_lshlrev_b64 v[8:9], 2, v[0:1]
                                        ; implicit-def: $vgpr0
	s_branch .LBB3_2
.LBB3_1:                                ;   in Loop: Header=BB3_2 Depth=1
	s_or_b32 exec_lo, exec_lo, s3
	v_add_co_u32 v30, vcc_lo, s18, v8
	v_add_co_ci_u32_e32 v31, vcc_lo, s19, v9, vcc_lo
	v_add_co_u32 v32, vcc_lo, s20, v8
	v_add_co_ci_u32_e32 v33, vcc_lo, s21, v9, vcc_lo
	;; [unrolled: 2-line block ×3, first 2 shown]
	global_load_b32 v28, v[30:31], off
	global_load_b32 v32, v[32:33], off
	;; [unrolled: 1-line block ×3, first 2 shown]
	v_dual_mul_f32 v40, v14, v14 :: v_dual_and_b32 v37, 1, v21
	v_dual_mul_f32 v42, v10, v10 :: v_dual_lshlrev_b32 v21, 30, v21
	v_mul_f32_e32 v35, v20, v20
	v_add_nc_u32_e64 v44, s25, 0
	v_dual_mul_f32 v33, v22, v22 :: v_dual_and_b32 v34, 1, v24
	s_delay_alu instid0(VALU_DEP_4) | instskip(SKIP_2) | instid1(VALU_DEP_4)
	v_fmaak_f32 v55, s28, v42, 0x3c0881c4
	v_and_b32_e32 v39, 1, v18
	v_lshlrev_b32_e32 v18, 30, v18
	v_fmaak_f32 v48, s29, v33, 0xbab64f3b
	v_dual_fmaak_f32 v50, s29, v35, 0xbab64f3b :: v_dual_and_b32 v43, 1, v29
	v_fmaak_f32 v55, v42, v55, 0xbe2aaa9d
	v_dual_mul_f32 v30, v26, v26 :: v_dual_and_b32 v31, 1, v27
	s_delay_alu instid0(VALU_DEP_3) | instskip(NEXT) | instid1(VALU_DEP_3)
	v_dual_fmaak_f32 v50, v35, v50, 0x3d2aabf7 :: v_dual_and_b32 v41, 1, v15
	v_mul_f32_e32 v55, v42, v55
	v_fmaak_f32 v53, s28, v40, 0x3c0881c4
	s_delay_alu instid0(VALU_DEP_4) | instskip(SKIP_1) | instid1(VALU_DEP_3)
	v_dual_fmaak_f32 v46, s29, v30, 0xbab64f3b :: v_dual_lshlrev_b32 v27, 30, v27
	v_mul_f32_e32 v38, v16, v16
	v_dual_fmac_f32 v10, v10, v55 :: v_dual_fmaak_f32 v53, v40, v53, 0xbe2aaa9d
	s_delay_alu instid0(VALU_DEP_3) | instskip(SKIP_2) | instid1(VALU_DEP_4)
	v_dual_fmaak_f32 v46, v30, v46, 0x3d2aabf7 :: v_dual_lshlrev_b32 v29, 30, v29
	v_fmaak_f32 v54, s29, v40, 0xbab64f3b
	v_dual_fmaak_f32 v45, s28, v30, 0x3c0881c4 :: v_dual_lshlrev_b32 v24, 30, v24
	v_mul_f32_e32 v53, v40, v53
	v_fmaak_f32 v49, s28, v35, 0x3c0881c4
	s_delay_alu instid0(VALU_DEP_4)
	v_fmaak_f32 v54, v40, v54, 0x3d2aabf7
	v_dual_fmaak_f32 v46, v30, v46, 0xbf000004 :: v_dual_lshlrev_b32 v15, 30, v15
	v_fmaak_f32 v52, s29, v38, 0xbab64f3b
	v_fmac_f32_e32 v14, v14, v53
	v_fmaak_f32 v49, v35, v49, 0xbe2aaa9d
	v_fmaak_f32 v56, s29, v42, 0xbab64f3b
	;; [unrolled: 1-line block ×3, first 2 shown]
	v_cmp_eq_u32_e32 vcc_lo, 0, v31
	s_delay_alu instid0(VALU_DEP_4) | instskip(SKIP_1) | instid1(VALU_DEP_4)
	v_dual_fmaak_f32 v52, v38, v52, 0x3d2aabf7 :: v_dual_mul_f32 v49, v35, v49
	v_fmaak_f32 v51, s28, v38, 0x3c0881c4
	v_fma_f32 v40, v40, v54, 1.0
	v_fmaak_f32 v45, v30, v45, 0xbe2aaa9d
	v_and_b32_e32 v24, 0x80000000, v24
	s_delay_alu instid0(VALU_DEP_4) | instskip(NEXT) | instid1(VALU_DEP_3)
	v_dual_fmac_f32 v20, v20, v49 :: v_dual_fmaak_f32 v51, v38, v51, 0xbe2aaa9d
	v_dual_fmaak_f32 v48, v33, v48, 0x3d2aabf7 :: v_dual_mul_f32 v45, v30, v45
	v_and_b32_e32 v27, 0x80000000, v27
	v_fma_f32 v30, v30, v46, 1.0
	s_delay_alu instid0(VALU_DEP_4) | instskip(SKIP_3) | instid1(VALU_DEP_4)
	v_mul_f32_e32 v51, v38, v51
	v_fmaak_f32 v47, s28, v33, 0x3c0881c4
	v_fmaak_f32 v48, v33, v48, 0xbf000004
	v_dual_fmac_f32 v26, v26, v45 :: v_dual_and_b32 v15, 0x80000000, v15
	v_fmac_f32_e32 v16, v16, v51
	s_delay_alu instid0(VALU_DEP_4)
	v_fmaak_f32 v47, v33, v47, 0xbe2aaa9d
	v_and_b32_e32 v18, 0x80000000, v18
	v_fmaak_f32 v50, v35, v50, 0xbf000004
	v_cndmask_b32_e32 v26, v30, v26, vcc_lo
	v_cmp_eq_u32_e32 vcc_lo, 0, v34
	v_mul_f32_e32 v47, v33, v47
	v_and_b32_e32 v21, 0x80000000, v21
	v_fma_f32 v33, v33, v48, 1.0
	v_fmaak_f32 v52, v38, v52, 0xbf000004
	v_fma_f32 v35, v35, v50, 1.0
	v_fmac_f32_e32 v22, v22, v47
	v_xor_b32_e32 v25, v25, v23
	v_xor_b32_e32 v13, v13, v12
	v_fma_f32 v38, v38, v52, 1.0
	v_cmp_class_f32_e64 s3, v12, 0x1f8
	v_cndmask_b32_e64 v22, -v22, v33, vcc_lo
	v_cmp_eq_u32_e32 vcc_lo, 0, v37
	v_and_b32_e32 v29, 0x80000000, v29
	v_xor3_b32 v25, v25, v27, v26
	v_cmp_class_f32_e64 s4, v23, 0x1f8
	v_xor_b32_e32 v19, v19, v17
	v_cndmask_b32_e32 v20, v35, v20, vcc_lo
	v_cmp_eq_u32_e32 vcc_lo, 0, v39
	v_xor_b32_e32 v22, v24, v22
	s_add_i32 s5, s25, 0
	s_add_i32 s25, s25, 48
	s_mov_b32 m0, s6
	v_cndmask_b32_e64 v16, -v16, v38, vcc_lo
	v_cmp_eq_u32_e32 vcc_lo, 0, v41
	s_add_u32 s6, s6, 1
	s_addc_u32 s7, s7, 0
	s_cmpk_lg_i32 s25, 0x180
	v_xor_b32_e32 v16, v18, v16
	v_cndmask_b32_e32 v14, v40, v14, vcc_lo
	v_cmp_eq_u32_e32 vcc_lo, 0, v43
	v_add_nc_u32_e32 v18, 32, v44
	v_movreld_b32_e32 v0, 0
	v_cndmask_b32_e64 v16, 0x7fc00000, v16, s3
	v_xor3_b32 v12, v13, v15, v14
	v_cndmask_b32_e64 v13, 0x7fc00000, v25, s4
	v_fmaak_f32 v56, v42, v56, 0x3d2aabf7
	s_delay_alu instid0(VALU_DEP_3) | instskip(NEXT) | instid1(VALU_DEP_2)
	v_cndmask_b32_e64 v12, 0x7fc00000, v12, s3
	v_fmaak_f32 v56, v42, v56, 0xbf000004
	s_delay_alu instid0(VALU_DEP_1) | instskip(NEXT) | instid1(VALU_DEP_1)
	v_fma_f32 v42, v42, v56, 1.0
	v_cndmask_b32_e64 v10, -v10, v42, vcc_lo
	v_cmp_class_f32_e64 vcc_lo, v17, 0x1f8
	v_xor3_b32 v17, v19, v21, v20
	v_mul_f32_e32 v21, v16, v13
	s_delay_alu instid0(VALU_DEP_4) | instskip(SKIP_1) | instid1(VALU_DEP_4)
	v_xor_b32_e32 v10, v29, v10
	v_cndmask_b32_e32 v14, 0x7fc00000, v22, vcc_lo
	v_cndmask_b32_e32 v15, 0x7fc00000, v17, vcc_lo
	v_add_co_u32 v8, vcc_lo, v8, s26
	s_delay_alu instid0(VALU_DEP_4) | instskip(NEXT) | instid1(VALU_DEP_4)
	v_cndmask_b32_e64 v10, 0x7fc00000, v10, s4
	v_mul_f32_e32 v35, v16, v14
	s_delay_alu instid0(VALU_DEP_4) | instskip(SKIP_3) | instid1(VALU_DEP_4)
	v_mul_f32_e32 v20, v16, v15
	v_mul_f32_e32 v19, v12, v15
	v_add_co_ci_u32_e32 v9, vcc_lo, 0, v9, vcc_lo
	v_mul_f32_e32 v30, v16, v10
	v_mul_f32_e32 v27, v20, v10
	;; [unrolled: 1-line block ×4, first 2 shown]
	v_fma_f32 v26, v19, v10, -v21
	v_add_nc_u32_e32 v17, 16, v44
	v_fmac_f32_e32 v27, v12, v13
	v_mul_f32_e32 v29, v14, v13
	v_fmac_f32_e32 v30, v19, v13
	v_fma_f32 v31, v20, v13, -v22
	v_xor_b32_e32 v33, 0x80000000, v15
	v_mul_f32_e32 v34, v12, v14
	s_waitcnt vmcnt(2)
	scratch_store_b128 off, v[25:28], s5
	s_waitcnt vmcnt(1)
	scratch_store_b128 v17, v[29:32], off
	s_waitcnt vmcnt(0)
	scratch_store_b128 v18, v[33:36], off
	s_cbranch_scc0 .LBB3_26
.LBB3_2:                                ; =>This Inner Loop Header: Depth=1
	s_waitcnt lgkmcnt(0)
	s_delay_alu instid0(VALU_DEP_1) | instskip(NEXT) | instid1(VALU_DEP_2)
	v_add_co_u32 v12, vcc_lo, s12, v8
	v_add_co_ci_u32_e32 v13, vcc_lo, s13, v9, vcc_lo
                                        ; implicit-def: $vgpr15
                                        ; implicit-def: $vgpr14
	global_load_b32 v12, v[12:13], off
	s_waitcnt vmcnt(0)
	v_and_b32_e32 v13, 0x7fffffff, v12
	v_cmp_ngt_f32_e64 s30, 0x48000000, |v12|
	s_delay_alu instid0(VALU_DEP_2) | instskip(SKIP_1) | instid1(VALU_DEP_2)
	v_lshrrev_b32_e32 v10, 23, v13
	v_and_or_b32 v17, v13, s27, 0x800000
	v_add_nc_u32_e32 v19, 0xffffff88, v10
	s_delay_alu instid0(VALU_DEP_4) | instskip(NEXT) | instid1(SALU_CYCLE_1)
	s_and_saveexec_b32 s3, s30
	s_xor_b32 s31, exec_lo, s3
	s_cbranch_execz .LBB3_4
; %bb.3:                                ;   in Loop: Header=BB3_2 Depth=1
	v_mad_u64_u32 v[14:15], null, 0xfe5163ab, v17, 0
	v_cmp_lt_u32_e32 vcc_lo, 63, v19
	s_delay_alu instid0(VALU_DEP_2) | instskip(NEXT) | instid1(VALU_DEP_1)
	v_mov_b32_e32 v10, v15
	v_mad_u64_u32 v[15:16], null, 0x3c439041, v17, v[10:11]
	s_delay_alu instid0(VALU_DEP_1) | instskip(SKIP_1) | instid1(VALU_DEP_2)
	v_mov_b32_e32 v10, v16
	v_cndmask_b32_e64 v16, 0, 0xffffffc0, vcc_lo
	v_mad_u64_u32 v[20:21], null, 0xdb629599, v17, v[10:11]
	s_delay_alu instid0(VALU_DEP_2) | instskip(NEXT) | instid1(VALU_DEP_1)
	v_add_nc_u32_e32 v16, v16, v19
	v_cmp_lt_u32_e64 s3, 31, v16
	s_delay_alu instid0(VALU_DEP_3) | instskip(NEXT) | instid1(VALU_DEP_4)
	v_mov_b32_e32 v10, v21
	v_cndmask_b32_e32 v14, v20, v14, vcc_lo
	s_delay_alu instid0(VALU_DEP_3) | instskip(NEXT) | instid1(VALU_DEP_3)
	v_cndmask_b32_e64 v18, 0, 0xffffffe0, s3
	v_mad_u64_u32 v[21:22], null, 0xf534ddc0, v17, v[10:11]
	s_delay_alu instid0(VALU_DEP_2) | instskip(NEXT) | instid1(VALU_DEP_2)
	v_add_nc_u32_e32 v16, v18, v16
	v_mov_b32_e32 v10, v22
	s_delay_alu instid0(VALU_DEP_2) | instskip(NEXT) | instid1(VALU_DEP_4)
	v_cmp_lt_u32_e64 s4, 31, v16
	v_cndmask_b32_e32 v15, v21, v15, vcc_lo
	s_delay_alu instid0(VALU_DEP_3) | instskip(NEXT) | instid1(VALU_DEP_2)
	v_mad_u64_u32 v[22:23], null, 0xfc2757d1, v17, v[10:11]
	v_cndmask_b32_e64 v14, v15, v14, s3
	s_delay_alu instid0(VALU_DEP_2) | instskip(NEXT) | instid1(VALU_DEP_1)
	v_mov_b32_e32 v10, v23
	v_mad_u64_u32 v[23:24], null, 0x4e441529, v17, v[10:11]
	s_delay_alu instid0(VALU_DEP_1) | instskip(NEXT) | instid1(VALU_DEP_2)
	v_mov_b32_e32 v10, v24
	v_cndmask_b32_e32 v18, v23, v21, vcc_lo
	s_delay_alu instid0(VALU_DEP_2) | instskip(SKIP_1) | instid1(VALU_DEP_1)
	v_mad_u64_u32 v[24:25], null, 0xa2f9836e, v17, v[10:11]
	v_cndmask_b32_e64 v10, 0, 0xffffffe0, s4
	v_add_nc_u32_e32 v10, v10, v16
	s_delay_alu instid0(VALU_DEP_3) | instskip(SKIP_1) | instid1(VALU_DEP_3)
	v_dual_cndmask_b32 v24, v24, v22 :: v_dual_cndmask_b32 v23, v25, v23
	v_cndmask_b32_e32 v22, v22, v20, vcc_lo
	v_cmp_eq_u32_e64 s5, 0, v10
	s_delay_alu instid0(VALU_DEP_3) | instskip(NEXT) | instid1(VALU_DEP_4)
	v_cndmask_b32_e64 v16, v24, v18, s3
	v_cndmask_b32_e64 v21, v23, v24, s3
	s_delay_alu instid0(VALU_DEP_4) | instskip(SKIP_2) | instid1(VALU_DEP_4)
	v_cndmask_b32_e64 v18, v18, v22, s3
	v_sub_nc_u32_e32 v23, 32, v10
	v_cndmask_b32_e64 v22, v22, v15, s3
	v_cndmask_b32_e64 v21, v21, v16, s4
	s_delay_alu instid0(VALU_DEP_4) | instskip(NEXT) | instid1(VALU_DEP_3)
	v_cndmask_b32_e64 v16, v16, v18, s4
	v_cndmask_b32_e64 v18, v18, v22, s4
	;; [unrolled: 1-line block ×3, first 2 shown]
	s_delay_alu instid0(VALU_DEP_3) | instskip(NEXT) | instid1(VALU_DEP_3)
	v_alignbit_b32 v24, v21, v16, v23
	v_alignbit_b32 v25, v16, v18, v23
	s_delay_alu instid0(VALU_DEP_3) | instskip(NEXT) | instid1(VALU_DEP_3)
	v_alignbit_b32 v23, v18, v14, v23
	v_cndmask_b32_e64 v10, v24, v21, s5
	s_delay_alu instid0(VALU_DEP_3) | instskip(NEXT) | instid1(VALU_DEP_3)
	v_cndmask_b32_e64 v16, v25, v16, s5
	v_cndmask_b32_e64 v18, v23, v18, s5
	s_delay_alu instid0(VALU_DEP_3) | instskip(NEXT) | instid1(VALU_DEP_3)
	v_bfe_u32 v20, v10, 29, 1
	v_alignbit_b32 v15, v10, v16, 30
	s_delay_alu instid0(VALU_DEP_3) | instskip(SKIP_1) | instid1(VALU_DEP_4)
	v_alignbit_b32 v16, v16, v18, 30
	v_alignbit_b32 v14, v18, v14, 30
	v_sub_nc_u32_e32 v21, 0, v20
	s_delay_alu instid0(VALU_DEP_1) | instskip(SKIP_3) | instid1(VALU_DEP_4)
	v_xor_b32_e32 v22, v15, v21
	v_cmp_ne_u32_e32 vcc_lo, v15, v21
	v_xor_b32_e32 v16, v16, v21
	v_xor_b32_e32 v14, v14, v21
	v_clz_i32_u32_e32 v24, v22
	s_delay_alu instid0(VALU_DEP_1) | instskip(NEXT) | instid1(VALU_DEP_1)
	v_add_nc_u32_e32 v23, 1, v24
	v_cndmask_b32_e32 v15, 33, v23, vcc_lo
	s_delay_alu instid0(VALU_DEP_1) | instskip(NEXT) | instid1(VALU_DEP_1)
	v_sub_nc_u32_e32 v18, 32, v15
	v_alignbit_b32 v21, v22, v16, v18
	v_alignbit_b32 v14, v16, v14, v18
	v_lshrrev_b32_e32 v16, 29, v10
	v_lshrrev_b32_e32 v10, 30, v10
	s_delay_alu instid0(VALU_DEP_3) | instskip(NEXT) | instid1(VALU_DEP_3)
	v_alignbit_b32 v18, v21, v14, 9
	v_lshlrev_b32_e32 v16, 31, v16
	v_alignbit_b32 v21, v15, v21, 9
	s_delay_alu instid0(VALU_DEP_3) | instskip(NEXT) | instid1(VALU_DEP_2)
	v_clz_i32_u32_e32 v22, v18
	v_or_b32_e32 v21, v21, v16
	v_or_b32_e32 v16, 0x33800000, v16
	s_delay_alu instid0(VALU_DEP_3) | instskip(NEXT) | instid1(VALU_DEP_3)
	v_min_u32_e32 v22, 32, v22
	v_xor_b32_e32 v21, 1.0, v21
	s_delay_alu instid0(VALU_DEP_2) | instskip(SKIP_1) | instid1(VALU_DEP_3)
	v_sub_nc_u32_e32 v23, 31, v22
	v_add_lshl_u32 v15, v22, v15, 23
	v_mul_f32_e32 v22, 0x3fc90fda, v21
	s_delay_alu instid0(VALU_DEP_3) | instskip(NEXT) | instid1(VALU_DEP_3)
	v_alignbit_b32 v14, v18, v14, v23
	v_sub_nc_u32_e32 v15, v16, v15
	s_delay_alu instid0(VALU_DEP_3) | instskip(NEXT) | instid1(VALU_DEP_3)
	v_fma_f32 v16, 0x3fc90fda, v21, -v22
	v_lshrrev_b32_e32 v14, 9, v14
	s_delay_alu instid0(VALU_DEP_2) | instskip(NEXT) | instid1(VALU_DEP_2)
	v_fmac_f32_e32 v16, 0x33a22168, v21
	v_or_b32_e32 v14, v15, v14
	v_add_nc_u32_e32 v15, v20, v10
	s_delay_alu instid0(VALU_DEP_2) | instskip(NEXT) | instid1(VALU_DEP_1)
	v_fmac_f32_e32 v16, 0x3fc90fda, v14
	v_add_f32_e32 v14, v22, v16
.LBB3_4:                                ;   in Loop: Header=BB3_2 Depth=1
	s_or_saveexec_b32 s3, s31
	v_mul_f32_e64 v10, 0x3f22f983, |v12|
	s_delay_alu instid0(VALU_DEP_1)
	v_rndne_f32_e32 v10, v10
	s_xor_b32 exec_lo, exec_lo, s3
; %bb.5:                                ;   in Loop: Header=BB3_2 Depth=1
	s_delay_alu instid0(VALU_DEP_1) | instskip(SKIP_1) | instid1(VALU_DEP_2)
	v_fma_f32 v14, 0xbfc90fda, v10, |v12|
	v_cvt_i32_f32_e32 v15, v10
	v_fmac_f32_e32 v14, 0xb3a22168, v10
	s_delay_alu instid0(VALU_DEP_1)
	v_fmac_f32_e32 v14, 0xa7c234c4, v10
; %bb.6:                                ;   in Loop: Header=BB3_2 Depth=1
	s_or_b32 exec_lo, exec_lo, s3
                                        ; implicit-def: $vgpr18
                                        ; implicit-def: $vgpr16
	s_and_saveexec_b32 s3, s30
	s_delay_alu instid0(SALU_CYCLE_1)
	s_xor_b32 s30, exec_lo, s3
	s_cbranch_execz .LBB3_8
; %bb.7:                                ;   in Loop: Header=BB3_2 Depth=1
	v_mad_u64_u32 v[20:21], null, 0xfe5163ab, v17, 0
	v_cmp_lt_u32_e32 vcc_lo, 63, v19
	v_cndmask_b32_e64 v16, 0, 0xffffffc0, vcc_lo
	s_delay_alu instid0(VALU_DEP_3) | instskip(NEXT) | instid1(VALU_DEP_2)
	v_mov_b32_e32 v10, v21
	v_add_nc_u32_e32 v16, v16, v19
	s_delay_alu instid0(VALU_DEP_2) | instskip(NEXT) | instid1(VALU_DEP_2)
	v_mad_u64_u32 v[21:22], null, 0x3c439041, v17, v[10:11]
	v_cmp_lt_u32_e64 s3, 31, v16
	s_delay_alu instid0(VALU_DEP_2) | instskip(NEXT) | instid1(VALU_DEP_1)
	v_mov_b32_e32 v10, v22
	v_mad_u64_u32 v[22:23], null, 0xdb629599, v17, v[10:11]
	s_delay_alu instid0(VALU_DEP_1) | instskip(NEXT) | instid1(VALU_DEP_1)
	v_mov_b32_e32 v10, v23
	v_mad_u64_u32 v[23:24], null, 0xf534ddc0, v17, v[10:11]
	s_delay_alu instid0(VALU_DEP_1) | instskip(NEXT) | instid1(VALU_DEP_1)
	v_mov_b32_e32 v10, v24
	v_mad_u64_u32 v[24:25], null, 0xfc2757d1, v17, v[10:11]
	s_delay_alu instid0(VALU_DEP_1) | instskip(SKIP_1) | instid1(VALU_DEP_2)
	v_mov_b32_e32 v10, v25
	v_cndmask_b32_e64 v25, 0, 0xffffffe0, s3
	v_mad_u64_u32 v[18:19], null, 0x4e441529, v17, v[10:11]
	s_delay_alu instid0(VALU_DEP_2) | instskip(NEXT) | instid1(VALU_DEP_1)
	v_add_nc_u32_e32 v16, v25, v16
	v_cmp_lt_u32_e64 s4, 31, v16
	s_delay_alu instid0(VALU_DEP_3) | instskip(NEXT) | instid1(VALU_DEP_1)
	v_mov_b32_e32 v10, v19
	v_mad_u64_u32 v[25:26], null, 0xa2f9836e, v17, v[10:11]
	s_delay_alu instid0(VALU_DEP_3) | instskip(SKIP_1) | instid1(VALU_DEP_2)
	v_cndmask_b32_e64 v10, 0, 0xffffffe0, s4
	v_cndmask_b32_e32 v17, v18, v23, vcc_lo
	v_add_nc_u32_e32 v10, v10, v16
	s_delay_alu instid0(VALU_DEP_4) | instskip(SKIP_2) | instid1(VALU_DEP_4)
	v_dual_cndmask_b32 v19, v25, v24 :: v_dual_cndmask_b32 v18, v26, v18
	v_cndmask_b32_e32 v24, v24, v22, vcc_lo
	v_cndmask_b32_e32 v16, v23, v21, vcc_lo
	v_cmp_eq_u32_e64 s5, 0, v10
	s_delay_alu instid0(VALU_DEP_4) | instskip(SKIP_4) | instid1(VALU_DEP_4)
	v_cndmask_b32_e64 v21, v19, v17, s3
	v_cndmask_b32_e64 v18, v18, v19, s3
	;; [unrolled: 1-line block ×3, first 2 shown]
	v_sub_nc_u32_e32 v19, 32, v10
	v_cndmask_b32_e64 v23, v24, v16, s3
	v_cndmask_b32_e64 v18, v18, v21, s4
	s_delay_alu instid0(VALU_DEP_4) | instskip(NEXT) | instid1(VALU_DEP_3)
	v_cndmask_b32_e64 v21, v21, v17, s4
	v_cndmask_b32_e64 v17, v17, v23, s4
	s_delay_alu instid0(VALU_DEP_2) | instskip(NEXT) | instid1(VALU_DEP_2)
	v_alignbit_b32 v24, v18, v21, v19
	v_alignbit_b32 v25, v21, v17, v19
	s_delay_alu instid0(VALU_DEP_2) | instskip(SKIP_1) | instid1(VALU_DEP_3)
	v_cndmask_b32_e64 v10, v24, v18, s5
	v_cndmask_b32_e32 v18, v22, v20, vcc_lo
	v_cndmask_b32_e64 v20, v25, v21, s5
	s_delay_alu instid0(VALU_DEP_3) | instskip(NEXT) | instid1(VALU_DEP_3)
	v_bfe_u32 v21, v10, 29, 1
	v_cndmask_b32_e64 v16, v16, v18, s3
	s_delay_alu instid0(VALU_DEP_3) | instskip(NEXT) | instid1(VALU_DEP_3)
	v_alignbit_b32 v18, v10, v20, 30
	v_sub_nc_u32_e32 v22, 0, v21
	s_delay_alu instid0(VALU_DEP_3) | instskip(NEXT) | instid1(VALU_DEP_2)
	v_cndmask_b32_e64 v16, v23, v16, s4
	v_xor_b32_e32 v23, v18, v22
	s_delay_alu instid0(VALU_DEP_2) | instskip(SKIP_1) | instid1(VALU_DEP_3)
	v_alignbit_b32 v19, v17, v16, v19
	v_cmp_ne_u32_e32 vcc_lo, v18, v22
	v_clz_i32_u32_e32 v24, v23
	s_delay_alu instid0(VALU_DEP_3) | instskip(NEXT) | instid1(VALU_DEP_2)
	v_cndmask_b32_e64 v17, v19, v17, s5
	v_add_nc_u32_e32 v19, 1, v24
	s_delay_alu instid0(VALU_DEP_2) | instskip(SKIP_1) | instid1(VALU_DEP_3)
	v_alignbit_b32 v20, v20, v17, 30
	v_alignbit_b32 v16, v17, v16, 30
	v_cndmask_b32_e32 v18, 33, v19, vcc_lo
	s_delay_alu instid0(VALU_DEP_3) | instskip(NEXT) | instid1(VALU_DEP_3)
	v_xor_b32_e32 v17, v20, v22
	v_xor_b32_e32 v16, v16, v22
	s_delay_alu instid0(VALU_DEP_3) | instskip(NEXT) | instid1(VALU_DEP_1)
	v_sub_nc_u32_e32 v19, 32, v18
	v_alignbit_b32 v20, v23, v17, v19
	s_delay_alu instid0(VALU_DEP_3) | instskip(SKIP_2) | instid1(VALU_DEP_3)
	v_alignbit_b32 v16, v17, v16, v19
	v_lshrrev_b32_e32 v17, 29, v10
	v_lshrrev_b32_e32 v10, 30, v10
	v_alignbit_b32 v19, v20, v16, 9
	s_delay_alu instid0(VALU_DEP_3) | instskip(SKIP_1) | instid1(VALU_DEP_3)
	v_lshlrev_b32_e32 v17, 31, v17
	v_alignbit_b32 v20, v18, v20, 9
	v_clz_i32_u32_e32 v22, v19
	s_delay_alu instid0(VALU_DEP_2) | instskip(SKIP_1) | instid1(VALU_DEP_3)
	v_or_b32_e32 v20, v20, v17
	v_or_b32_e32 v17, 0x33800000, v17
	v_min_u32_e32 v22, 32, v22
	s_delay_alu instid0(VALU_DEP_3) | instskip(NEXT) | instid1(VALU_DEP_2)
	v_xor_b32_e32 v20, 1.0, v20
	v_sub_nc_u32_e32 v23, 31, v22
	v_add_lshl_u32 v18, v22, v18, 23
	s_delay_alu instid0(VALU_DEP_3) | instskip(NEXT) | instid1(VALU_DEP_3)
	v_mul_f32_e32 v22, 0x3fc90fda, v20
	v_alignbit_b32 v16, v19, v16, v23
	s_delay_alu instid0(VALU_DEP_3) | instskip(NEXT) | instid1(VALU_DEP_3)
	v_sub_nc_u32_e32 v17, v17, v18
	v_fma_f32 v18, 0x3fc90fda, v20, -v22
	s_delay_alu instid0(VALU_DEP_3) | instskip(NEXT) | instid1(VALU_DEP_2)
	v_lshrrev_b32_e32 v16, 9, v16
	v_fmac_f32_e32 v18, 0x33a22168, v20
	s_delay_alu instid0(VALU_DEP_2) | instskip(NEXT) | instid1(VALU_DEP_1)
	v_or_b32_e32 v16, v17, v16
	v_fmac_f32_e32 v18, 0x3fc90fda, v16
	s_delay_alu instid0(VALU_DEP_1)
	v_add_f32_e32 v16, v22, v18
	v_add_nc_u32_e32 v18, v21, v10
                                        ; implicit-def: $vgpr10
	s_and_not1_saveexec_b32 s3, s30
	s_cbranch_execnz .LBB3_9
	s_branch .LBB3_10
.LBB3_8:                                ;   in Loop: Header=BB3_2 Depth=1
	s_and_not1_saveexec_b32 s3, s30
.LBB3_9:                                ;   in Loop: Header=BB3_2 Depth=1
	v_fma_f32 v16, 0xbfc90fda, v10, |v12|
	v_cvt_i32_f32_e32 v18, v10
	s_delay_alu instid0(VALU_DEP_2) | instskip(NEXT) | instid1(VALU_DEP_1)
	v_fmac_f32_e32 v16, 0xb3a22168, v10
	v_fmac_f32_e32 v16, 0xa7c234c4, v10
.LBB3_10:                               ;   in Loop: Header=BB3_2 Depth=1
	s_or_b32 exec_lo, exec_lo, s3
	v_add_co_u32 v19, vcc_lo, s14, v8
	v_add_co_ci_u32_e32 v20, vcc_lo, s15, v9, vcc_lo
                                        ; implicit-def: $vgpr21
	global_load_b32 v17, v[19:20], off
                                        ; implicit-def: $vgpr20
	s_waitcnt vmcnt(0)
	v_and_b32_e32 v19, 0x7fffffff, v17
	v_cmp_ngt_f32_e64 s30, 0x48000000, |v17|
	s_delay_alu instid0(VALU_DEP_2) | instskip(SKIP_1) | instid1(VALU_DEP_2)
	v_lshrrev_b32_e32 v10, 23, v19
	v_and_or_b32 v23, v19, s27, 0x800000
	v_add_nc_u32_e32 v25, 0xffffff88, v10
	s_delay_alu instid0(VALU_DEP_4) | instskip(NEXT) | instid1(SALU_CYCLE_1)
	s_and_saveexec_b32 s3, s30
	s_xor_b32 s31, exec_lo, s3
	s_cbranch_execz .LBB3_12
; %bb.11:                               ;   in Loop: Header=BB3_2 Depth=1
	v_mad_u64_u32 v[20:21], null, 0xfe5163ab, v23, 0
	v_cmp_lt_u32_e32 vcc_lo, 63, v25
	s_delay_alu instid0(VALU_DEP_2) | instskip(NEXT) | instid1(VALU_DEP_1)
	v_mov_b32_e32 v10, v21
	v_mad_u64_u32 v[21:22], null, 0x3c439041, v23, v[10:11]
	s_delay_alu instid0(VALU_DEP_1) | instskip(SKIP_1) | instid1(VALU_DEP_2)
	v_mov_b32_e32 v10, v22
	v_cndmask_b32_e64 v22, 0, 0xffffffc0, vcc_lo
	v_mad_u64_u32 v[26:27], null, 0xdb629599, v23, v[10:11]
	s_delay_alu instid0(VALU_DEP_2) | instskip(NEXT) | instid1(VALU_DEP_1)
	v_add_nc_u32_e32 v22, v22, v25
	v_cmp_lt_u32_e64 s3, 31, v22
	s_delay_alu instid0(VALU_DEP_3) | instskip(NEXT) | instid1(VALU_DEP_4)
	v_mov_b32_e32 v10, v27
	v_cndmask_b32_e32 v20, v26, v20, vcc_lo
	s_delay_alu instid0(VALU_DEP_3) | instskip(NEXT) | instid1(VALU_DEP_3)
	v_cndmask_b32_e64 v24, 0, 0xffffffe0, s3
	v_mad_u64_u32 v[27:28], null, 0xf534ddc0, v23, v[10:11]
	s_delay_alu instid0(VALU_DEP_2) | instskip(NEXT) | instid1(VALU_DEP_2)
	v_add_nc_u32_e32 v22, v24, v22
	v_mov_b32_e32 v10, v28
	s_delay_alu instid0(VALU_DEP_2) | instskip(NEXT) | instid1(VALU_DEP_4)
	v_cmp_lt_u32_e64 s4, 31, v22
	v_cndmask_b32_e32 v21, v27, v21, vcc_lo
	s_delay_alu instid0(VALU_DEP_3) | instskip(NEXT) | instid1(VALU_DEP_2)
	v_mad_u64_u32 v[28:29], null, 0xfc2757d1, v23, v[10:11]
	v_cndmask_b32_e64 v20, v21, v20, s3
	s_delay_alu instid0(VALU_DEP_2) | instskip(NEXT) | instid1(VALU_DEP_1)
	v_mov_b32_e32 v10, v29
	v_mad_u64_u32 v[29:30], null, 0x4e441529, v23, v[10:11]
	s_delay_alu instid0(VALU_DEP_1) | instskip(NEXT) | instid1(VALU_DEP_2)
	v_mov_b32_e32 v10, v30
	v_cndmask_b32_e32 v24, v29, v27, vcc_lo
	s_delay_alu instid0(VALU_DEP_2) | instskip(SKIP_1) | instid1(VALU_DEP_1)
	v_mad_u64_u32 v[30:31], null, 0xa2f9836e, v23, v[10:11]
	v_cndmask_b32_e64 v10, 0, 0xffffffe0, s4
	v_add_nc_u32_e32 v10, v10, v22
	s_delay_alu instid0(VALU_DEP_3) | instskip(SKIP_1) | instid1(VALU_DEP_3)
	v_dual_cndmask_b32 v30, v30, v28 :: v_dual_cndmask_b32 v29, v31, v29
	v_cndmask_b32_e32 v28, v28, v26, vcc_lo
	v_cmp_eq_u32_e64 s5, 0, v10
	s_delay_alu instid0(VALU_DEP_3) | instskip(NEXT) | instid1(VALU_DEP_4)
	v_cndmask_b32_e64 v22, v30, v24, s3
	v_cndmask_b32_e64 v27, v29, v30, s3
	s_delay_alu instid0(VALU_DEP_4) | instskip(SKIP_2) | instid1(VALU_DEP_4)
	v_cndmask_b32_e64 v24, v24, v28, s3
	v_sub_nc_u32_e32 v29, 32, v10
	v_cndmask_b32_e64 v28, v28, v21, s3
	v_cndmask_b32_e64 v27, v27, v22, s4
	s_delay_alu instid0(VALU_DEP_4) | instskip(NEXT) | instid1(VALU_DEP_3)
	v_cndmask_b32_e64 v22, v22, v24, s4
	v_cndmask_b32_e64 v24, v24, v28, s4
	;; [unrolled: 1-line block ×3, first 2 shown]
	s_delay_alu instid0(VALU_DEP_3) | instskip(NEXT) | instid1(VALU_DEP_3)
	v_alignbit_b32 v30, v27, v22, v29
	v_alignbit_b32 v31, v22, v24, v29
	s_delay_alu instid0(VALU_DEP_3) | instskip(NEXT) | instid1(VALU_DEP_3)
	v_alignbit_b32 v29, v24, v20, v29
	v_cndmask_b32_e64 v10, v30, v27, s5
	s_delay_alu instid0(VALU_DEP_3) | instskip(NEXT) | instid1(VALU_DEP_3)
	v_cndmask_b32_e64 v22, v31, v22, s5
	v_cndmask_b32_e64 v24, v29, v24, s5
	s_delay_alu instid0(VALU_DEP_3) | instskip(NEXT) | instid1(VALU_DEP_3)
	v_bfe_u32 v26, v10, 29, 1
	v_alignbit_b32 v21, v10, v22, 30
	s_delay_alu instid0(VALU_DEP_3) | instskip(SKIP_1) | instid1(VALU_DEP_4)
	v_alignbit_b32 v22, v22, v24, 30
	v_alignbit_b32 v20, v24, v20, 30
	v_sub_nc_u32_e32 v27, 0, v26
	s_delay_alu instid0(VALU_DEP_1) | instskip(SKIP_3) | instid1(VALU_DEP_4)
	v_xor_b32_e32 v28, v21, v27
	v_cmp_ne_u32_e32 vcc_lo, v21, v27
	v_xor_b32_e32 v22, v22, v27
	v_xor_b32_e32 v20, v20, v27
	v_clz_i32_u32_e32 v30, v28
	s_delay_alu instid0(VALU_DEP_1) | instskip(NEXT) | instid1(VALU_DEP_1)
	v_add_nc_u32_e32 v29, 1, v30
	v_cndmask_b32_e32 v21, 33, v29, vcc_lo
	s_delay_alu instid0(VALU_DEP_1) | instskip(NEXT) | instid1(VALU_DEP_1)
	v_sub_nc_u32_e32 v24, 32, v21
	v_alignbit_b32 v27, v28, v22, v24
	v_alignbit_b32 v20, v22, v20, v24
	v_lshrrev_b32_e32 v22, 29, v10
	v_lshrrev_b32_e32 v10, 30, v10
	s_delay_alu instid0(VALU_DEP_3) | instskip(NEXT) | instid1(VALU_DEP_3)
	v_alignbit_b32 v24, v27, v20, 9
	v_lshlrev_b32_e32 v22, 31, v22
	v_alignbit_b32 v27, v21, v27, 9
	s_delay_alu instid0(VALU_DEP_3) | instskip(NEXT) | instid1(VALU_DEP_2)
	v_clz_i32_u32_e32 v28, v24
	v_or_b32_e32 v27, v27, v22
	v_or_b32_e32 v22, 0x33800000, v22
	s_delay_alu instid0(VALU_DEP_3) | instskip(NEXT) | instid1(VALU_DEP_3)
	v_min_u32_e32 v28, 32, v28
	v_xor_b32_e32 v27, 1.0, v27
	s_delay_alu instid0(VALU_DEP_2) | instskip(SKIP_1) | instid1(VALU_DEP_3)
	v_sub_nc_u32_e32 v29, 31, v28
	v_add_lshl_u32 v21, v28, v21, 23
	v_mul_f32_e32 v28, 0x3fc90fda, v27
	s_delay_alu instid0(VALU_DEP_3) | instskip(NEXT) | instid1(VALU_DEP_3)
	v_alignbit_b32 v20, v24, v20, v29
	v_sub_nc_u32_e32 v21, v22, v21
	s_delay_alu instid0(VALU_DEP_3) | instskip(NEXT) | instid1(VALU_DEP_3)
	v_fma_f32 v22, 0x3fc90fda, v27, -v28
	v_lshrrev_b32_e32 v20, 9, v20
	s_delay_alu instid0(VALU_DEP_2) | instskip(NEXT) | instid1(VALU_DEP_2)
	v_fmac_f32_e32 v22, 0x33a22168, v27
	v_or_b32_e32 v20, v21, v20
	s_delay_alu instid0(VALU_DEP_1) | instskip(NEXT) | instid1(VALU_DEP_1)
	v_dual_fmac_f32 v22, 0x3fc90fda, v20 :: v_dual_add_nc_u32 v21, v26, v10
	v_add_f32_e32 v20, v28, v22
.LBB3_12:                               ;   in Loop: Header=BB3_2 Depth=1
	s_or_saveexec_b32 s3, s31
	v_mul_f32_e64 v10, 0x3f22f983, |v17|
	s_delay_alu instid0(VALU_DEP_1)
	v_rndne_f32_e32 v10, v10
	s_xor_b32 exec_lo, exec_lo, s3
; %bb.13:                               ;   in Loop: Header=BB3_2 Depth=1
	s_delay_alu instid0(VALU_DEP_1) | instskip(SKIP_1) | instid1(VALU_DEP_2)
	v_fma_f32 v20, 0xbfc90fda, v10, |v17|
	v_cvt_i32_f32_e32 v21, v10
	v_fmac_f32_e32 v20, 0xb3a22168, v10
	s_delay_alu instid0(VALU_DEP_1)
	v_fmac_f32_e32 v20, 0xa7c234c4, v10
; %bb.14:                               ;   in Loop: Header=BB3_2 Depth=1
	s_or_b32 exec_lo, exec_lo, s3
                                        ; implicit-def: $vgpr24
                                        ; implicit-def: $vgpr22
	s_and_saveexec_b32 s3, s30
	s_delay_alu instid0(SALU_CYCLE_1)
	s_xor_b32 s30, exec_lo, s3
	s_cbranch_execz .LBB3_16
; %bb.15:                               ;   in Loop: Header=BB3_2 Depth=1
	v_mad_u64_u32 v[26:27], null, 0xfe5163ab, v23, 0
	v_cmp_lt_u32_e32 vcc_lo, 63, v25
	v_cndmask_b32_e64 v22, 0, 0xffffffc0, vcc_lo
	s_delay_alu instid0(VALU_DEP_3) | instskip(NEXT) | instid1(VALU_DEP_2)
	v_mov_b32_e32 v10, v27
	v_add_nc_u32_e32 v22, v22, v25
	s_delay_alu instid0(VALU_DEP_2) | instskip(NEXT) | instid1(VALU_DEP_2)
	v_mad_u64_u32 v[27:28], null, 0x3c439041, v23, v[10:11]
	v_cmp_lt_u32_e64 s3, 31, v22
	s_delay_alu instid0(VALU_DEP_2) | instskip(NEXT) | instid1(VALU_DEP_1)
	v_mov_b32_e32 v10, v28
	v_mad_u64_u32 v[28:29], null, 0xdb629599, v23, v[10:11]
	s_delay_alu instid0(VALU_DEP_1) | instskip(NEXT) | instid1(VALU_DEP_1)
	v_mov_b32_e32 v10, v29
	v_mad_u64_u32 v[29:30], null, 0xf534ddc0, v23, v[10:11]
	s_delay_alu instid0(VALU_DEP_1) | instskip(NEXT) | instid1(VALU_DEP_1)
	v_mov_b32_e32 v10, v30
	v_mad_u64_u32 v[30:31], null, 0xfc2757d1, v23, v[10:11]
	s_delay_alu instid0(VALU_DEP_1) | instskip(SKIP_1) | instid1(VALU_DEP_2)
	v_mov_b32_e32 v10, v31
	v_cndmask_b32_e64 v31, 0, 0xffffffe0, s3
	v_mad_u64_u32 v[24:25], null, 0x4e441529, v23, v[10:11]
	s_delay_alu instid0(VALU_DEP_2) | instskip(NEXT) | instid1(VALU_DEP_1)
	v_add_nc_u32_e32 v22, v31, v22
	v_cmp_lt_u32_e64 s4, 31, v22
	s_delay_alu instid0(VALU_DEP_3) | instskip(NEXT) | instid1(VALU_DEP_1)
	v_mov_b32_e32 v10, v25
	v_mad_u64_u32 v[31:32], null, 0xa2f9836e, v23, v[10:11]
	s_delay_alu instid0(VALU_DEP_3) | instskip(NEXT) | instid1(VALU_DEP_1)
	v_cndmask_b32_e64 v10, 0, 0xffffffe0, s4
	v_dual_cndmask_b32 v23, v24, v29 :: v_dual_add_nc_u32 v10, v10, v22
	s_delay_alu instid0(VALU_DEP_3) | instskip(SKIP_2) | instid1(VALU_DEP_4)
	v_dual_cndmask_b32 v25, v31, v30 :: v_dual_cndmask_b32 v24, v32, v24
	v_cndmask_b32_e32 v30, v30, v28, vcc_lo
	v_cndmask_b32_e32 v22, v29, v27, vcc_lo
	v_cmp_eq_u32_e64 s5, 0, v10
	s_delay_alu instid0(VALU_DEP_4) | instskip(SKIP_4) | instid1(VALU_DEP_4)
	v_cndmask_b32_e64 v27, v25, v23, s3
	v_cndmask_b32_e64 v24, v24, v25, s3
	;; [unrolled: 1-line block ×3, first 2 shown]
	v_sub_nc_u32_e32 v25, 32, v10
	v_cndmask_b32_e64 v29, v30, v22, s3
	v_cndmask_b32_e64 v24, v24, v27, s4
	s_delay_alu instid0(VALU_DEP_4) | instskip(NEXT) | instid1(VALU_DEP_3)
	v_cndmask_b32_e64 v27, v27, v23, s4
	v_cndmask_b32_e64 v23, v23, v29, s4
	s_delay_alu instid0(VALU_DEP_2) | instskip(NEXT) | instid1(VALU_DEP_2)
	v_alignbit_b32 v30, v24, v27, v25
	v_alignbit_b32 v31, v27, v23, v25
	s_delay_alu instid0(VALU_DEP_2) | instskip(SKIP_1) | instid1(VALU_DEP_3)
	v_cndmask_b32_e64 v10, v30, v24, s5
	v_cndmask_b32_e32 v24, v28, v26, vcc_lo
	v_cndmask_b32_e64 v26, v31, v27, s5
	s_delay_alu instid0(VALU_DEP_3) | instskip(NEXT) | instid1(VALU_DEP_3)
	v_bfe_u32 v27, v10, 29, 1
	v_cndmask_b32_e64 v22, v22, v24, s3
	s_delay_alu instid0(VALU_DEP_3) | instskip(NEXT) | instid1(VALU_DEP_3)
	v_alignbit_b32 v24, v10, v26, 30
	v_sub_nc_u32_e32 v28, 0, v27
	s_delay_alu instid0(VALU_DEP_3) | instskip(NEXT) | instid1(VALU_DEP_2)
	v_cndmask_b32_e64 v22, v29, v22, s4
	v_xor_b32_e32 v29, v24, v28
	s_delay_alu instid0(VALU_DEP_2) | instskip(SKIP_1) | instid1(VALU_DEP_3)
	v_alignbit_b32 v25, v23, v22, v25
	v_cmp_ne_u32_e32 vcc_lo, v24, v28
	v_clz_i32_u32_e32 v30, v29
	s_delay_alu instid0(VALU_DEP_3) | instskip(NEXT) | instid1(VALU_DEP_2)
	v_cndmask_b32_e64 v23, v25, v23, s5
	v_add_nc_u32_e32 v25, 1, v30
	s_delay_alu instid0(VALU_DEP_2) | instskip(SKIP_1) | instid1(VALU_DEP_3)
	v_alignbit_b32 v26, v26, v23, 30
	v_alignbit_b32 v22, v23, v22, 30
	v_cndmask_b32_e32 v24, 33, v25, vcc_lo
	s_delay_alu instid0(VALU_DEP_3) | instskip(NEXT) | instid1(VALU_DEP_3)
	v_xor_b32_e32 v23, v26, v28
	v_xor_b32_e32 v22, v22, v28
	s_delay_alu instid0(VALU_DEP_3) | instskip(NEXT) | instid1(VALU_DEP_1)
	v_sub_nc_u32_e32 v25, 32, v24
	v_alignbit_b32 v26, v29, v23, v25
	s_delay_alu instid0(VALU_DEP_3) | instskip(SKIP_2) | instid1(VALU_DEP_3)
	v_alignbit_b32 v22, v23, v22, v25
	v_lshrrev_b32_e32 v23, 29, v10
	v_lshrrev_b32_e32 v10, 30, v10
	v_alignbit_b32 v25, v26, v22, 9
	s_delay_alu instid0(VALU_DEP_3) | instskip(SKIP_1) | instid1(VALU_DEP_3)
	v_lshlrev_b32_e32 v23, 31, v23
	v_alignbit_b32 v26, v24, v26, 9
	v_clz_i32_u32_e32 v28, v25
	s_delay_alu instid0(VALU_DEP_2) | instskip(SKIP_1) | instid1(VALU_DEP_3)
	v_or_b32_e32 v26, v26, v23
	v_or_b32_e32 v23, 0x33800000, v23
	v_min_u32_e32 v28, 32, v28
	s_delay_alu instid0(VALU_DEP_3) | instskip(NEXT) | instid1(VALU_DEP_2)
	v_xor_b32_e32 v26, 1.0, v26
	v_sub_nc_u32_e32 v29, 31, v28
	v_add_lshl_u32 v24, v28, v24, 23
	s_delay_alu instid0(VALU_DEP_3) | instskip(NEXT) | instid1(VALU_DEP_3)
	v_mul_f32_e32 v28, 0x3fc90fda, v26
	v_alignbit_b32 v22, v25, v22, v29
	s_delay_alu instid0(VALU_DEP_3) | instskip(NEXT) | instid1(VALU_DEP_3)
	v_sub_nc_u32_e32 v23, v23, v24
	v_fma_f32 v24, 0x3fc90fda, v26, -v28
	s_delay_alu instid0(VALU_DEP_3) | instskip(NEXT) | instid1(VALU_DEP_2)
	v_lshrrev_b32_e32 v22, 9, v22
	v_fmac_f32_e32 v24, 0x33a22168, v26
	s_delay_alu instid0(VALU_DEP_2) | instskip(NEXT) | instid1(VALU_DEP_1)
	v_or_b32_e32 v22, v23, v22
	v_fmac_f32_e32 v24, 0x3fc90fda, v22
	s_delay_alu instid0(VALU_DEP_1)
	v_add_f32_e32 v22, v28, v24
	v_add_nc_u32_e32 v24, v27, v10
                                        ; implicit-def: $vgpr10
	s_and_not1_saveexec_b32 s3, s30
	s_cbranch_execnz .LBB3_17
	s_branch .LBB3_18
.LBB3_16:                               ;   in Loop: Header=BB3_2 Depth=1
	s_and_not1_saveexec_b32 s3, s30
.LBB3_17:                               ;   in Loop: Header=BB3_2 Depth=1
	v_fma_f32 v22, 0xbfc90fda, v10, |v17|
	v_cvt_i32_f32_e32 v24, v10
	s_delay_alu instid0(VALU_DEP_2) | instskip(NEXT) | instid1(VALU_DEP_1)
	v_fmac_f32_e32 v22, 0xb3a22168, v10
	v_fmac_f32_e32 v22, 0xa7c234c4, v10
.LBB3_18:                               ;   in Loop: Header=BB3_2 Depth=1
	s_or_b32 exec_lo, exec_lo, s3
	v_add_co_u32 v25, vcc_lo, s16, v8
	v_add_co_ci_u32_e32 v26, vcc_lo, s17, v9, vcc_lo
                                        ; implicit-def: $vgpr27
	global_load_b32 v23, v[25:26], off
                                        ; implicit-def: $vgpr26
	s_waitcnt vmcnt(0)
	v_and_b32_e32 v25, 0x7fffffff, v23
	v_cmp_ngt_f32_e64 s30, 0x48000000, |v23|
	s_delay_alu instid0(VALU_DEP_2) | instskip(SKIP_1) | instid1(VALU_DEP_2)
	v_lshrrev_b32_e32 v10, 23, v25
	v_and_or_b32 v28, v25, s27, 0x800000
	v_add_nc_u32_e32 v30, 0xffffff88, v10
	s_delay_alu instid0(VALU_DEP_4) | instskip(NEXT) | instid1(SALU_CYCLE_1)
	s_and_saveexec_b32 s3, s30
	s_xor_b32 s31, exec_lo, s3
	s_cbranch_execz .LBB3_20
; %bb.19:                               ;   in Loop: Header=BB3_2 Depth=1
	v_mad_u64_u32 v[26:27], null, 0xfe5163ab, v28, 0
	v_cmp_lt_u32_e32 vcc_lo, 63, v30
	s_delay_alu instid0(VALU_DEP_2) | instskip(SKIP_1) | instid1(VALU_DEP_1)
	v_mov_b32_e32 v10, v27
	v_cndmask_b32_e64 v27, 0, 0xffffffc0, vcc_lo
	v_add_nc_u32_e32 v27, v27, v30
	s_delay_alu instid0(VALU_DEP_1) | instskip(NEXT) | instid1(VALU_DEP_1)
	v_cmp_lt_u32_e64 s3, 31, v27
	v_cndmask_b32_e64 v29, 0, 0xffffffe0, s3
	s_delay_alu instid0(VALU_DEP_1) | instskip(SKIP_1) | instid1(VALU_DEP_2)
	v_add_nc_u32_e32 v27, v29, v27
	v_mad_u64_u32 v[31:32], null, 0x3c439041, v28, v[10:11]
	v_cmp_lt_u32_e64 s4, 31, v27
	s_delay_alu instid0(VALU_DEP_2) | instskip(NEXT) | instid1(VALU_DEP_1)
	v_mov_b32_e32 v10, v32
	v_mad_u64_u32 v[32:33], null, 0xdb629599, v28, v[10:11]
	s_delay_alu instid0(VALU_DEP_1) | instskip(NEXT) | instid1(VALU_DEP_2)
	v_mov_b32_e32 v10, v33
	v_cndmask_b32_e32 v26, v32, v26, vcc_lo
	s_delay_alu instid0(VALU_DEP_2) | instskip(NEXT) | instid1(VALU_DEP_1)
	v_mad_u64_u32 v[33:34], null, 0xf534ddc0, v28, v[10:11]
	v_mov_b32_e32 v10, v34
	s_delay_alu instid0(VALU_DEP_1) | instskip(NEXT) | instid1(VALU_DEP_1)
	v_mad_u64_u32 v[34:35], null, 0xfc2757d1, v28, v[10:11]
	v_mov_b32_e32 v10, v35
	s_delay_alu instid0(VALU_DEP_1) | instskip(NEXT) | instid1(VALU_DEP_1)
	v_mad_u64_u32 v[35:36], null, 0x4e441529, v28, v[10:11]
	v_dual_mov_b32 v10, v36 :: v_dual_cndmask_b32 v29, v35, v33
	s_delay_alu instid0(VALU_DEP_1) | instskip(SKIP_1) | instid1(VALU_DEP_1)
	v_mad_u64_u32 v[36:37], null, 0xa2f9836e, v28, v[10:11]
	v_cndmask_b32_e64 v10, 0, 0xffffffe0, s4
	v_add_nc_u32_e32 v10, v10, v27
	s_delay_alu instid0(VALU_DEP_3) | instskip(SKIP_1) | instid1(VALU_DEP_3)
	v_dual_cndmask_b32 v36, v36, v34 :: v_dual_cndmask_b32 v35, v37, v35
	v_dual_cndmask_b32 v34, v34, v32 :: v_dual_cndmask_b32 v27, v33, v31
	v_cmp_eq_u32_e64 s5, 0, v10
	s_delay_alu instid0(VALU_DEP_3) | instskip(NEXT) | instid1(VALU_DEP_4)
	v_cndmask_b32_e64 v31, v36, v29, s3
	v_cndmask_b32_e64 v33, v35, v36, s3
	s_delay_alu instid0(VALU_DEP_4)
	v_cndmask_b32_e64 v29, v29, v34, s3
	v_sub_nc_u32_e32 v35, 32, v10
	v_cndmask_b32_e64 v34, v34, v27, s3
	v_cndmask_b32_e64 v26, v27, v26, s3
	;; [unrolled: 1-line block ×4, first 2 shown]
	s_delay_alu instid0(VALU_DEP_4) | instskip(NEXT) | instid1(VALU_DEP_4)
	v_cndmask_b32_e64 v29, v29, v34, s4
	v_cndmask_b32_e64 v26, v34, v26, s4
	s_delay_alu instid0(VALU_DEP_3) | instskip(NEXT) | instid1(VALU_DEP_3)
	v_alignbit_b32 v36, v33, v31, v35
	v_alignbit_b32 v37, v31, v29, v35
	s_delay_alu instid0(VALU_DEP_3) | instskip(NEXT) | instid1(VALU_DEP_3)
	v_alignbit_b32 v35, v29, v26, v35
	v_cndmask_b32_e64 v10, v36, v33, s5
	s_delay_alu instid0(VALU_DEP_3) | instskip(NEXT) | instid1(VALU_DEP_3)
	v_cndmask_b32_e64 v31, v37, v31, s5
	v_cndmask_b32_e64 v29, v35, v29, s5
	s_delay_alu instid0(VALU_DEP_3) | instskip(NEXT) | instid1(VALU_DEP_3)
	v_bfe_u32 v32, v10, 29, 1
	v_alignbit_b32 v27, v10, v31, 30
	s_delay_alu instid0(VALU_DEP_3) | instskip(SKIP_1) | instid1(VALU_DEP_4)
	v_alignbit_b32 v31, v31, v29, 30
	v_alignbit_b32 v26, v29, v26, 30
	v_sub_nc_u32_e32 v33, 0, v32
	s_delay_alu instid0(VALU_DEP_1) | instskip(SKIP_3) | instid1(VALU_DEP_4)
	v_xor_b32_e32 v34, v27, v33
	v_cmp_ne_u32_e32 vcc_lo, v27, v33
	v_xor_b32_e32 v29, v31, v33
	v_xor_b32_e32 v26, v26, v33
	v_clz_i32_u32_e32 v36, v34
	s_delay_alu instid0(VALU_DEP_1) | instskip(NEXT) | instid1(VALU_DEP_1)
	v_add_nc_u32_e32 v35, 1, v36
	v_cndmask_b32_e32 v27, 33, v35, vcc_lo
	s_delay_alu instid0(VALU_DEP_1) | instskip(NEXT) | instid1(VALU_DEP_1)
	v_sub_nc_u32_e32 v31, 32, v27
	v_alignbit_b32 v33, v34, v29, v31
	v_alignbit_b32 v26, v29, v26, v31
	v_lshrrev_b32_e32 v29, 29, v10
	v_lshrrev_b32_e32 v10, 30, v10
	s_delay_alu instid0(VALU_DEP_3) | instskip(NEXT) | instid1(VALU_DEP_3)
	v_alignbit_b32 v31, v33, v26, 9
	v_lshlrev_b32_e32 v29, 31, v29
	v_alignbit_b32 v33, v27, v33, 9
	s_delay_alu instid0(VALU_DEP_3) | instskip(NEXT) | instid1(VALU_DEP_2)
	v_clz_i32_u32_e32 v34, v31
	v_or_b32_e32 v33, v33, v29
	v_or_b32_e32 v29, 0x33800000, v29
	s_delay_alu instid0(VALU_DEP_3) | instskip(NEXT) | instid1(VALU_DEP_3)
	v_min_u32_e32 v34, 32, v34
	v_xor_b32_e32 v33, 1.0, v33
	s_delay_alu instid0(VALU_DEP_2) | instskip(SKIP_1) | instid1(VALU_DEP_2)
	v_sub_nc_u32_e32 v35, 31, v34
	v_add_lshl_u32 v27, v34, v27, 23
	v_alignbit_b32 v26, v31, v26, v35
	s_delay_alu instid0(VALU_DEP_2) | instskip(NEXT) | instid1(VALU_DEP_2)
	v_sub_nc_u32_e32 v27, v29, v27
	v_lshrrev_b32_e32 v26, 9, v26
	s_delay_alu instid0(VALU_DEP_1) | instskip(SKIP_1) | instid1(VALU_DEP_1)
	v_or_b32_e32 v26, v27, v26
	v_dual_mul_f32 v34, 0x3fc90fda, v33 :: v_dual_add_nc_u32 v27, v32, v10
	v_fma_f32 v29, 0x3fc90fda, v33, -v34
	s_delay_alu instid0(VALU_DEP_1) | instskip(NEXT) | instid1(VALU_DEP_1)
	v_fmac_f32_e32 v29, 0x33a22168, v33
	v_fmac_f32_e32 v29, 0x3fc90fda, v26
	s_delay_alu instid0(VALU_DEP_1)
	v_add_f32_e32 v26, v34, v29
.LBB3_20:                               ;   in Loop: Header=BB3_2 Depth=1
	s_or_saveexec_b32 s3, s31
	v_mul_f32_e64 v10, 0x3f22f983, |v23|
	s_delay_alu instid0(VALU_DEP_1)
	v_rndne_f32_e32 v31, v10
	s_xor_b32 exec_lo, exec_lo, s3
; %bb.21:                               ;   in Loop: Header=BB3_2 Depth=1
	s_delay_alu instid0(VALU_DEP_1) | instskip(SKIP_1) | instid1(VALU_DEP_2)
	v_fma_f32 v26, 0xbfc90fda, v31, |v23|
	v_cvt_i32_f32_e32 v27, v31
	v_fmac_f32_e32 v26, 0xb3a22168, v31
	s_delay_alu instid0(VALU_DEP_1)
	v_fmac_f32_e32 v26, 0xa7c234c4, v31
; %bb.22:                               ;   in Loop: Header=BB3_2 Depth=1
	s_or_b32 exec_lo, exec_lo, s3
                                        ; implicit-def: $vgpr29
                                        ; implicit-def: $vgpr10
	s_and_saveexec_b32 s3, s30
	s_delay_alu instid0(SALU_CYCLE_1)
	s_xor_b32 s30, exec_lo, s3
	s_cbranch_execz .LBB3_24
; %bb.23:                               ;   in Loop: Header=BB3_2 Depth=1
	v_mad_u64_u32 v[31:32], null, 0xfe5163ab, v28, 0
	v_cmp_lt_u32_e32 vcc_lo, 63, v30
	v_cndmask_b32_e64 v29, 0, 0xffffffc0, vcc_lo
	s_delay_alu instid0(VALU_DEP_3) | instskip(NEXT) | instid1(VALU_DEP_1)
	v_mov_b32_e32 v10, v32
	v_mad_u64_u32 v[32:33], null, 0x3c439041, v28, v[10:11]
	s_delay_alu instid0(VALU_DEP_1) | instskip(NEXT) | instid1(VALU_DEP_1)
	v_mov_b32_e32 v10, v33
	v_mad_u64_u32 v[33:34], null, 0xdb629599, v28, v[10:11]
	s_delay_alu instid0(VALU_DEP_1) | instskip(NEXT) | instid1(VALU_DEP_1)
	;; [unrolled: 3-line block ×3, first 2 shown]
	v_mov_b32_e32 v10, v35
	v_mad_u64_u32 v[35:36], null, 0xfc2757d1, v28, v[10:11]
	s_delay_alu instid0(VALU_DEP_1) | instskip(SKIP_1) | instid1(VALU_DEP_2)
	v_mov_b32_e32 v10, v36
	v_add_nc_u32_e32 v36, v29, v30
	v_mad_u64_u32 v[29:30], null, 0x4e441529, v28, v[10:11]
	s_delay_alu instid0(VALU_DEP_2) | instskip(NEXT) | instid1(VALU_DEP_1)
	v_cmp_lt_u32_e64 s3, 31, v36
	v_cndmask_b32_e64 v37, 0, 0xffffffe0, s3
	s_delay_alu instid0(VALU_DEP_3) | instskip(NEXT) | instid1(VALU_DEP_2)
	v_mov_b32_e32 v10, v30
	v_add_nc_u32_e32 v30, v37, v36
	s_delay_alu instid0(VALU_DEP_2) | instskip(SKIP_1) | instid1(VALU_DEP_3)
	v_mad_u64_u32 v[36:37], null, 0xa2f9836e, v28, v[10:11]
	v_cndmask_b32_e32 v28, v29, v34, vcc_lo
	v_cmp_lt_u32_e64 s4, 31, v30
	s_delay_alu instid0(VALU_DEP_3) | instskip(NEXT) | instid1(VALU_DEP_2)
	v_cndmask_b32_e32 v36, v36, v35, vcc_lo
	v_cndmask_b32_e64 v10, 0, 0xffffffe0, s4
	v_cndmask_b32_e32 v29, v37, v29, vcc_lo
	s_delay_alu instid0(VALU_DEP_2) | instskip(SKIP_2) | instid1(VALU_DEP_4)
	v_dual_cndmask_b32 v35, v35, v33 :: v_dual_add_nc_u32 v10, v10, v30
	v_cndmask_b32_e32 v30, v34, v32, vcc_lo
	v_cndmask_b32_e64 v32, v36, v28, s3
	v_cndmask_b32_e64 v29, v29, v36, s3
	s_delay_alu instid0(VALU_DEP_4)
	v_cndmask_b32_e64 v28, v28, v35, s3
	v_sub_nc_u32_e32 v34, 32, v10
	v_cndmask_b32_e64 v35, v35, v30, s3
	v_cmp_eq_u32_e64 s5, 0, v10
	v_cndmask_b32_e64 v29, v29, v32, s4
	v_cndmask_b32_e64 v32, v32, v28, s4
	s_delay_alu instid0(VALU_DEP_4) | instskip(NEXT) | instid1(VALU_DEP_2)
	v_cndmask_b32_e64 v28, v28, v35, s4
	v_alignbit_b32 v36, v29, v32, v34
	s_delay_alu instid0(VALU_DEP_2) | instskip(NEXT) | instid1(VALU_DEP_2)
	v_alignbit_b32 v37, v32, v28, v34
	v_cndmask_b32_e64 v10, v36, v29, s5
	v_cndmask_b32_e32 v29, v33, v31, vcc_lo
	s_delay_alu instid0(VALU_DEP_3) | instskip(NEXT) | instid1(VALU_DEP_3)
	v_cndmask_b32_e64 v31, v37, v32, s5
	v_bfe_u32 v32, v10, 29, 1
	s_delay_alu instid0(VALU_DEP_3) | instskip(NEXT) | instid1(VALU_DEP_3)
	v_cndmask_b32_e64 v29, v30, v29, s3
	v_alignbit_b32 v30, v10, v31, 30
	s_delay_alu instid0(VALU_DEP_3) | instskip(NEXT) | instid1(VALU_DEP_3)
	v_sub_nc_u32_e32 v33, 0, v32
	v_cndmask_b32_e64 v29, v35, v29, s4
	s_delay_alu instid0(VALU_DEP_2) | instskip(NEXT) | instid1(VALU_DEP_2)
	v_xor_b32_e32 v35, v30, v33
	v_alignbit_b32 v34, v28, v29, v34
	v_cmp_ne_u32_e32 vcc_lo, v30, v33
	s_delay_alu instid0(VALU_DEP_3) | instskip(NEXT) | instid1(VALU_DEP_3)
	v_clz_i32_u32_e32 v36, v35
	v_cndmask_b32_e64 v28, v34, v28, s5
	s_delay_alu instid0(VALU_DEP_2) | instskip(NEXT) | instid1(VALU_DEP_2)
	v_add_nc_u32_e32 v34, 1, v36
	v_alignbit_b32 v31, v31, v28, 30
	v_alignbit_b32 v28, v28, v29, 30
	s_delay_alu instid0(VALU_DEP_3) | instskip(NEXT) | instid1(VALU_DEP_3)
	v_cndmask_b32_e32 v30, 33, v34, vcc_lo
	v_xor_b32_e32 v29, v31, v33
	s_delay_alu instid0(VALU_DEP_3) | instskip(NEXT) | instid1(VALU_DEP_3)
	v_xor_b32_e32 v28, v28, v33
	v_sub_nc_u32_e32 v31, 32, v30
	s_delay_alu instid0(VALU_DEP_1) | instskip(NEXT) | instid1(VALU_DEP_3)
	v_alignbit_b32 v33, v35, v29, v31
	v_alignbit_b32 v28, v29, v28, v31
	v_lshrrev_b32_e32 v29, 29, v10
	s_delay_alu instid0(VALU_DEP_2) | instskip(NEXT) | instid1(VALU_DEP_2)
	v_alignbit_b32 v31, v33, v28, 9
	v_lshlrev_b32_e32 v29, 31, v29
	v_alignbit_b32 v33, v30, v33, 9
	s_delay_alu instid0(VALU_DEP_3) | instskip(NEXT) | instid1(VALU_DEP_2)
	v_clz_i32_u32_e32 v34, v31
	v_or_b32_e32 v33, v33, v29
	v_or_b32_e32 v29, 0x33800000, v29
	s_delay_alu instid0(VALU_DEP_3) | instskip(NEXT) | instid1(VALU_DEP_3)
	v_min_u32_e32 v34, 32, v34
	v_xor_b32_e32 v33, 1.0, v33
	s_delay_alu instid0(VALU_DEP_2) | instskip(SKIP_1) | instid1(VALU_DEP_3)
	v_sub_nc_u32_e32 v35, 31, v34
	v_add_lshl_u32 v30, v34, v30, 23
	v_mul_f32_e32 v34, 0x3fc90fda, v33
	s_delay_alu instid0(VALU_DEP_3) | instskip(NEXT) | instid1(VALU_DEP_3)
	v_alignbit_b32 v28, v31, v28, v35
	v_sub_nc_u32_e32 v29, v29, v30
	s_delay_alu instid0(VALU_DEP_3) | instskip(NEXT) | instid1(VALU_DEP_3)
	v_fma_f32 v30, 0x3fc90fda, v33, -v34
                                        ; implicit-def: $vgpr31
	v_lshrrev_b32_e32 v28, 9, v28
	s_delay_alu instid0(VALU_DEP_2) | instskip(NEXT) | instid1(VALU_DEP_2)
	v_fmac_f32_e32 v30, 0x33a22168, v33
	v_or_b32_e32 v28, v29, v28
	s_delay_alu instid0(VALU_DEP_1) | instskip(SKIP_1) | instid1(VALU_DEP_1)
	v_fmac_f32_e32 v30, 0x3fc90fda, v28
	v_lshrrev_b32_e32 v28, 30, v10
	v_dual_add_f32 v10, v34, v30 :: v_dual_add_nc_u32 v29, v32, v28
	s_and_not1_saveexec_b32 s3, s30
	s_cbranch_execz .LBB3_1
	s_branch .LBB3_25
.LBB3_24:                               ;   in Loop: Header=BB3_2 Depth=1
	s_and_not1_saveexec_b32 s3, s30
	s_cbranch_execz .LBB3_1
.LBB3_25:                               ;   in Loop: Header=BB3_2 Depth=1
	v_fma_f32 v10, 0xbfc90fda, v31, |v23|
	v_cvt_i32_f32_e32 v29, v31
	s_delay_alu instid0(VALU_DEP_2) | instskip(NEXT) | instid1(VALU_DEP_1)
	v_fmac_f32_e32 v10, 0xb3a22168, v31
	v_fmac_f32_e32 v10, 0xa7c234c4, v31
	s_branch .LBB3_1
.LBB3_26:
	s_clause 0x17
	scratch_load_b128 v[8:11], off, off
	scratch_load_b128 v[12:15], off, off offset:16
	scratch_load_b128 v[16:19], off, off offset:32
	;; [unrolled: 1-line block ×23, first 2 shown]
	s_clause 0x1
	s_load_b64 s[4:5], s[0:1], 0x0
	s_load_b128 s[12:15], s[0:1], 0x48
	v_mov_b32_e32 v113, 0
	s_mov_b32 s17, 0
	s_delay_alu instid0(SALU_CYCLE_1)
	s_mov_b32 s16, s17
	s_waitcnt lgkmcnt(0)
	s_max_i32 s7, s5, 1
	s_max_i32 s20, s4, 1
	s_add_u32 s8, s8, 8
	s_addc_u32 s9, s9, 0
.LBB3_27:                               ; =>This Loop Header: Depth=1
                                        ;     Child Loop BB3_28 Depth 2
	s_lshl_b64 s[0:1], s[16:17], 4
	s_mov_b32 s21, s7
	s_add_u32 s0, s10, s0
	s_addc_u32 s1, s11, s1
	s_mov_b64 s[18:19], s[8:9]
	global_load_b128 v[108:111], v113, s[0:1]
	s_waitcnt vmcnt(0)
	v_ashrrev_i32_e32 v105, 31, v111
	v_fma_f32 v115, v108, v12, v15
	v_mov_b32_e32 v104, v111
	v_fma_f32 v114, v108, v8, v11
	v_fma_f32 v116, v108, v16, v19
	v_fma_f32 v117, v108, v20, v23
	v_fmac_f32_e32 v115, v109, v13
	v_lshlrev_b64 v[104:105], 4, v[104:105]
	v_fmac_f32_e32 v114, v109, v9
	v_fma_f32 v118, v108, v24, v27
	v_fma_f32 v119, v108, v28, v31
	v_fmac_f32_e32 v115, v110, v14
	s_delay_alu instid0(VALU_DEP_4) | instskip(SKIP_2) | instid1(VALU_DEP_3)
	v_dual_fmac_f32 v117, v109, v21 :: v_dual_fmac_f32 v114, v110, v10
	v_add_co_u32 v104, vcc_lo, s14, v104
	v_add_co_ci_u32_e32 v105, vcc_lo, s15, v105, vcc_lo
	v_dual_fmac_f32 v116, v109, v17 :: v_dual_fmac_f32 v117, v110, v22
	v_fma_f32 v120, v108, v32, v35
	global_load_b128 v[104:107], v[104:105], off
	v_fma_f32 v121, v108, v36, v39
	v_dual_fmac_f32 v119, v109, v29 :: v_dual_fmac_f32 v116, v110, v18
	v_fmac_f32_e32 v118, v109, v25
	v_fma_f32 v122, v108, v40, v43
	v_fma_f32 v123, v108, v44, v47
	s_delay_alu instid0(VALU_DEP_4) | instskip(NEXT) | instid1(VALU_DEP_4)
	v_fmac_f32_e32 v119, v110, v30
	v_dual_fmac_f32 v121, v109, v37 :: v_dual_fmac_f32 v118, v110, v26
	v_fmac_f32_e32 v120, v109, v33
	v_fma_f32 v124, v108, v48, v51
	v_fma_f32 v125, v108, v52, v55
	s_delay_alu instid0(VALU_DEP_4) | instskip(NEXT) | instid1(VALU_DEP_4)
	v_fmac_f32_e32 v121, v110, v38
	;; [unrolled: 6-line block ×8, first 2 shown]
	v_dual_fmac_f32 v135, v109, v93 :: v_dual_fmac_f32 v132, v110, v82
	s_delay_alu instid0(VALU_DEP_1) | instskip(NEXT) | instid1(VALU_DEP_1)
	v_dual_fmac_f32 v134, v109, v89 :: v_dual_fmac_f32 v135, v110, v94
	v_dual_fmac_f32 v137, v109, v101 :: v_dual_fmac_f32 v134, v110, v90
	s_delay_alu instid0(VALU_DEP_1) | instskip(NEXT) | instid1(VALU_DEP_1)
	v_dual_fmac_f32 v136, v109, v97 :: v_dual_fmac_f32 v137, v110, v102
	v_fmac_f32_e32 v136, v110, v98
	s_waitcnt vmcnt(0)
	v_cmp_gt_f32_e64 s0, 0, v106
	v_cmp_lt_f32_e64 s1, 0, v106
	v_cmp_eq_u32_e64 s3, 0x46, v104
	v_cmp_eq_u32_e64 s4, 0x45, v104
	s_delay_alu instid0(VALU_DEP_4)
	v_cndmask_b32_e64 v104, 1.0, 0x40b00000, s0
	v_cndmask_b32_e64 v138, 0xff7fffff, 1.0, s0
.LBB3_28:                               ;   Parent Loop BB3_27 Depth=1
                                        ; =>  This Inner Loop Header: Depth=2
	global_load_b128 v[108:111], v113, s[18:19] offset:-8
	s_waitcnt vmcnt(0)
	v_ashrrev_i32_e32 v140, 31, v111
	v_mov_b32_e32 v139, v111
	s_delay_alu instid0(VALU_DEP_1) | instskip(NEXT) | instid1(VALU_DEP_1)
	v_lshlrev_b64 v[139:140], 4, v[139:140]
	v_add_co_u32 v139, vcc_lo, s14, v139
	s_delay_alu instid0(VALU_DEP_2) | instskip(SKIP_4) | instid1(VALU_DEP_2)
	v_add_co_ci_u32_e32 v140, vcc_lo, s15, v140, vcc_lo
	global_load_b128 v[144:147], v[139:140], off
	s_waitcnt vmcnt(0)
	v_add_f32_e32 v145, v105, v145
	v_cmp_lt_f32_e64 s6, 0, v146
	v_div_scale_f32 v111, null, v145, v145, 1.0
	s_delay_alu instid0(VALU_DEP_2) | instskip(NEXT) | instid1(VALU_DEP_1)
	s_and_b32 s6, s6, s0
	v_rcp_f32_e32 v139, v111
	s_waitcnt_depctr 0xfff
	v_fma_f32 v140, -v111, v139, 1.0
	s_delay_alu instid0(VALU_DEP_1) | instskip(SKIP_1) | instid1(VALU_DEP_1)
	v_fmac_f32_e32 v139, v140, v139
	v_div_scale_f32 v140, vcc_lo, 1.0, v145, 1.0
	v_mul_f32_e32 v141, v140, v139
	s_delay_alu instid0(VALU_DEP_1) | instskip(NEXT) | instid1(VALU_DEP_1)
	v_fma_f32 v142, -v111, v141, v140
	v_fmac_f32_e32 v141, v142, v139
	s_delay_alu instid0(VALU_DEP_1) | instskip(NEXT) | instid1(VALU_DEP_1)
	v_fma_f32 v111, -v111, v141, v140
	v_div_fmas_f32 v111, v111, v139, v141
	v_cmp_eq_u32_e32 vcc_lo, 0x46, v144
	s_and_b32 s5, vcc_lo, s3
	v_cmp_eq_u32_e32 vcc_lo, 0x45, v144
	v_cndmask_b32_e64 v140, 2.0, 4.0, s5
	v_cndmask_b32_e64 v141, 0.5, 0x3e800000, s5
	v_cmp_neq_f32_e64 s5, 0, v146
	s_or_b32 s22, vcc_lo, s4
	v_cmp_gt_f32_e32 vcc_lo, 0, v146
	v_cndmask_b32_e32 v139, v138, v104, vcc_lo
	s_and_b32 s23, vcc_lo, s1
	s_delay_alu instid0(VALU_DEP_1) | instskip(NEXT) | instid1(VALU_DEP_1)
	v_div_scale_f32 v143, null, v139, v139, 1.0
	v_rcp_f32_e32 v144, v143
	s_waitcnt_depctr 0xfff
	v_fma_f32 v148, -v143, v144, 1.0
	s_delay_alu instid0(VALU_DEP_1) | instskip(SKIP_1) | instid1(VALU_DEP_1)
	v_fmac_f32_e32 v144, v148, v144
	v_div_scale_f32 v148, vcc_lo, 1.0, v139, 1.0
	v_mul_f32_e32 v149, v148, v144
	s_delay_alu instid0(VALU_DEP_1) | instskip(NEXT) | instid1(VALU_DEP_1)
	v_fma_f32 v150, -v143, v149, v148
	v_fmac_f32_e32 v149, v150, v144
	s_delay_alu instid0(VALU_DEP_1) | instskip(SKIP_1) | instid1(VALU_DEP_2)
	v_fma_f32 v143, -v143, v149, v148
	v_sub_f32_e32 v148, v116, v110
	v_div_fmas_f32 v143, v143, v144, v149
	v_mul_f32_e32 v144, v107, v147
	v_div_fixup_f32 v142, v111, v145, 1.0
	v_cndmask_b32_e64 v111, v146, -v146, s23
	v_cndmask_b32_e64 v146, v106, -v106, s6
	v_sub_f32_e32 v147, v115, v109
	s_delay_alu instid0(VALU_DEP_2) | instskip(NEXT) | instid1(VALU_DEP_2)
	v_dual_add_f32 v111, v111, v146 :: v_dual_sub_f32 v146, v114, v108
	v_mul_f32_e32 v147, v147, v147
	s_delay_alu instid0(VALU_DEP_1) | instskip(NEXT) | instid1(VALU_DEP_1)
	v_fmac_f32_e32 v147, v146, v146
	v_fmac_f32_e32 v147, v148, v148
	s_delay_alu instid0(VALU_DEP_1) | instskip(SKIP_2) | instid1(VALU_DEP_2)
	v_cmp_gt_f32_e32 vcc_lo, 0xf800000, v147
	v_mul_f32_e32 v146, 0x4f800000, v147
	v_div_fixup_f32 v143, v143, v139, 1.0
	v_cndmask_b32_e32 v146, v147, v146, vcc_lo
	s_delay_alu instid0(VALU_DEP_1) | instskip(SKIP_2) | instid1(VALU_DEP_1)
	v_sqrt_f32_e32 v147, v146
	s_waitcnt_depctr 0xfff
	v_add_nc_u32_e32 v148, -1, v147
	v_fma_f32 v149, -v148, v147, v146
	s_delay_alu instid0(VALU_DEP_1) | instskip(SKIP_1) | instid1(VALU_DEP_2)
	v_cmp_ge_f32_e64 s6, 0, v149
	v_add_nc_u32_e32 v149, 1, v147
	v_cndmask_b32_e64 v148, v147, v148, s6
	s_delay_alu instid0(VALU_DEP_2) | instskip(NEXT) | instid1(VALU_DEP_1)
	v_fma_f32 v147, -v149, v147, v146
	v_cmp_lt_f32_e64 s6, 0, v147
	s_delay_alu instid0(VALU_DEP_1) | instskip(NEXT) | instid1(VALU_DEP_1)
	v_cndmask_b32_e64 v147, v148, v149, s6
	v_mul_f32_e32 v148, 0x37800000, v147
	s_delay_alu instid0(VALU_DEP_1) | instskip(SKIP_1) | instid1(VALU_DEP_2)
	v_cndmask_b32_e32 v147, v147, v148, vcc_lo
	v_cmp_class_f32_e64 vcc_lo, v146, 0x260
	v_cndmask_b32_e32 v146, v147, v146, vcc_lo
	s_delay_alu instid0(VALU_DEP_1) | instskip(SKIP_1) | instid1(VALU_DEP_2)
	v_sub_f32_e32 v147, v146, v145
	v_fma_f32 v146, -v142, v146, 1.0
	v_cmp_gt_f32_e32 vcc_lo, 0, v147
	v_cmp_lt_f32_e64 s6, v147, v140
	v_cndmask_b32_e64 v148, 0, 0x42980000, vcc_lo
	s_delay_alu instid0(VALU_DEP_1) | instskip(SKIP_1) | instid1(VALU_DEP_4)
	v_fmac_f32_e32 v0, v146, v148
	v_fma_f32 v146, -v141, v147, 1.0
	v_cndmask_b32_e64 v148, 0, 1.0, s6
	s_delay_alu instid0(VALU_DEP_2) | instskip(NEXT) | instid1(VALU_DEP_1)
	v_cndmask_b32_e64 v146, v146, 1.0, vcc_lo
	v_mul_f32_e32 v146, v148, v146
	v_sub_f32_e32 v148, v119, v110
	v_cmp_lt_f32_e64 s6, v147, v139
	s_delay_alu instid0(VALU_DEP_3) | instskip(NEXT) | instid1(VALU_DEP_2)
	v_mul_f32_e32 v146, v144, v146
	s_and_b32 s6, s5, s6
	s_delay_alu instid0(VALU_DEP_1) | instskip(NEXT) | instid1(VALU_DEP_1)
	v_cndmask_b32_e64 v146, v146, -|v146|, s22
	v_fmac_f32_e32 v0, 0x42340000, v146
	v_fma_f32 v146, -v143, v147, 1.0
	v_cndmask_b32_e64 v147, 0, 1.0, s6
	s_delay_alu instid0(VALU_DEP_2) | instskip(NEXT) | instid1(VALU_DEP_2)
	v_cndmask_b32_e64 v146, v146, 1.0, vcc_lo
	v_mul_f32_e32 v147, v111, v147
	s_delay_alu instid0(VALU_DEP_1) | instskip(SKIP_1) | instid1(VALU_DEP_1)
	v_fmac_f32_e32 v0, v146, v147
	v_dual_sub_f32 v147, v118, v109 :: v_dual_sub_f32 v146, v117, v108
	v_mul_f32_e32 v147, v147, v147
	s_delay_alu instid0(VALU_DEP_1) | instskip(NEXT) | instid1(VALU_DEP_1)
	v_fmac_f32_e32 v147, v146, v146
	v_fmac_f32_e32 v147, v148, v148
	s_delay_alu instid0(VALU_DEP_1) | instskip(SKIP_1) | instid1(VALU_DEP_1)
	v_cmp_gt_f32_e32 vcc_lo, 0xf800000, v147
	v_mul_f32_e32 v146, 0x4f800000, v147
	v_cndmask_b32_e32 v146, v147, v146, vcc_lo
	s_delay_alu instid0(VALU_DEP_1) | instskip(SKIP_2) | instid1(VALU_DEP_1)
	v_sqrt_f32_e32 v147, v146
	s_waitcnt_depctr 0xfff
	v_add_nc_u32_e32 v148, -1, v147
	v_fma_f32 v149, -v148, v147, v146
	s_delay_alu instid0(VALU_DEP_1) | instskip(SKIP_1) | instid1(VALU_DEP_2)
	v_cmp_ge_f32_e64 s6, 0, v149
	v_add_nc_u32_e32 v149, 1, v147
	v_cndmask_b32_e64 v148, v147, v148, s6
	s_delay_alu instid0(VALU_DEP_2) | instskip(NEXT) | instid1(VALU_DEP_1)
	v_fma_f32 v147, -v149, v147, v146
	v_cmp_lt_f32_e64 s6, 0, v147
	s_delay_alu instid0(VALU_DEP_1) | instskip(NEXT) | instid1(VALU_DEP_1)
	v_cndmask_b32_e64 v147, v148, v149, s6
	v_mul_f32_e32 v148, 0x37800000, v147
	s_delay_alu instid0(VALU_DEP_1) | instskip(SKIP_1) | instid1(VALU_DEP_2)
	v_cndmask_b32_e32 v147, v147, v148, vcc_lo
	v_cmp_class_f32_e64 vcc_lo, v146, 0x260
	v_cndmask_b32_e32 v146, v147, v146, vcc_lo
	s_delay_alu instid0(VALU_DEP_1) | instskip(SKIP_1) | instid1(VALU_DEP_2)
	v_sub_f32_e32 v147, v146, v145
	v_fma_f32 v146, -v142, v146, 1.0
	v_cmp_gt_f32_e32 vcc_lo, 0, v147
	v_cmp_lt_f32_e64 s6, v147, v140
	v_cndmask_b32_e64 v148, 0, 0x42980000, vcc_lo
	s_delay_alu instid0(VALU_DEP_1) | instskip(SKIP_1) | instid1(VALU_DEP_4)
	v_fmac_f32_e32 v1, v146, v148
	v_fma_f32 v146, -v141, v147, 1.0
	v_cndmask_b32_e64 v148, 0, 1.0, s6
	v_cmp_lt_f32_e64 s6, v147, v139
	s_delay_alu instid0(VALU_DEP_3) | instskip(NEXT) | instid1(VALU_DEP_2)
	v_cndmask_b32_e64 v146, v146, 1.0, vcc_lo
	s_and_b32 s6, s5, s6
	s_delay_alu instid0(VALU_DEP_1) | instskip(SKIP_1) | instid1(VALU_DEP_2)
	v_mul_f32_e32 v146, v148, v146
	v_sub_f32_e32 v148, v122, v110
	v_mul_f32_e32 v146, v144, v146
	s_delay_alu instid0(VALU_DEP_1) | instskip(NEXT) | instid1(VALU_DEP_1)
	v_cndmask_b32_e64 v146, v146, -|v146|, s22
	v_fmac_f32_e32 v1, 0x42340000, v146
	v_fma_f32 v146, -v143, v147, 1.0
	v_cndmask_b32_e64 v147, 0, 1.0, s6
	s_delay_alu instid0(VALU_DEP_2) | instskip(NEXT) | instid1(VALU_DEP_2)
	v_cndmask_b32_e64 v146, v146, 1.0, vcc_lo
	v_mul_f32_e32 v147, v111, v147
	s_delay_alu instid0(VALU_DEP_1) | instskip(SKIP_1) | instid1(VALU_DEP_1)
	v_fmac_f32_e32 v1, v146, v147
	v_dual_sub_f32 v147, v121, v109 :: v_dual_sub_f32 v146, v120, v108
	v_mul_f32_e32 v147, v147, v147
	s_delay_alu instid0(VALU_DEP_1) | instskip(NEXT) | instid1(VALU_DEP_1)
	v_fmac_f32_e32 v147, v146, v146
	v_fmac_f32_e32 v147, v148, v148
	s_delay_alu instid0(VALU_DEP_1) | instskip(SKIP_1) | instid1(VALU_DEP_1)
	v_cmp_gt_f32_e32 vcc_lo, 0xf800000, v147
	v_mul_f32_e32 v146, 0x4f800000, v147
	v_cndmask_b32_e32 v146, v147, v146, vcc_lo
	s_delay_alu instid0(VALU_DEP_1) | instskip(SKIP_2) | instid1(VALU_DEP_1)
	v_sqrt_f32_e32 v147, v146
	s_waitcnt_depctr 0xfff
	v_add_nc_u32_e32 v148, -1, v147
	v_fma_f32 v149, -v148, v147, v146
	s_delay_alu instid0(VALU_DEP_1) | instskip(SKIP_1) | instid1(VALU_DEP_2)
	v_cmp_ge_f32_e64 s6, 0, v149
	v_add_nc_u32_e32 v149, 1, v147
	v_cndmask_b32_e64 v148, v147, v148, s6
	s_delay_alu instid0(VALU_DEP_2) | instskip(NEXT) | instid1(VALU_DEP_1)
	v_fma_f32 v147, -v149, v147, v146
	v_cmp_lt_f32_e64 s6, 0, v147
	s_delay_alu instid0(VALU_DEP_1) | instskip(NEXT) | instid1(VALU_DEP_1)
	v_cndmask_b32_e64 v147, v148, v149, s6
	v_mul_f32_e32 v148, 0x37800000, v147
	s_delay_alu instid0(VALU_DEP_1) | instskip(SKIP_1) | instid1(VALU_DEP_2)
	v_cndmask_b32_e32 v147, v147, v148, vcc_lo
	v_cmp_class_f32_e64 vcc_lo, v146, 0x260
	v_cndmask_b32_e32 v146, v147, v146, vcc_lo
	s_delay_alu instid0(VALU_DEP_1) | instskip(SKIP_1) | instid1(VALU_DEP_2)
	v_sub_f32_e32 v147, v146, v145
	v_fma_f32 v146, -v142, v146, 1.0
	v_cmp_gt_f32_e32 vcc_lo, 0, v147
	v_cmp_lt_f32_e64 s6, v147, v140
	v_cndmask_b32_e64 v148, 0, 0x42980000, vcc_lo
	s_delay_alu instid0(VALU_DEP_1) | instskip(SKIP_1) | instid1(VALU_DEP_4)
	v_fmac_f32_e32 v2, v146, v148
	v_fma_f32 v146, -v141, v147, 1.0
	v_cndmask_b32_e64 v148, 0, 1.0, s6
	v_cmp_lt_f32_e64 s6, v147, v139
	s_delay_alu instid0(VALU_DEP_3) | instskip(NEXT) | instid1(VALU_DEP_2)
	v_cndmask_b32_e64 v146, v146, 1.0, vcc_lo
	s_and_b32 s6, s5, s6
	s_delay_alu instid0(VALU_DEP_1) | instskip(NEXT) | instid1(VALU_DEP_1)
	v_mul_f32_e32 v146, v148, v146
	v_mul_f32_e32 v146, v144, v146
	s_delay_alu instid0(VALU_DEP_1) | instskip(NEXT) | instid1(VALU_DEP_1)
	v_cndmask_b32_e64 v146, v146, -|v146|, s22
	v_fmac_f32_e32 v2, 0x42340000, v146
	v_fma_f32 v146, -v143, v147, 1.0
	v_cndmask_b32_e64 v147, 0, 1.0, s6
	s_delay_alu instid0(VALU_DEP_2) | instskip(NEXT) | instid1(VALU_DEP_2)
	v_cndmask_b32_e64 v146, v146, 1.0, vcc_lo
	v_mul_f32_e32 v147, v111, v147
	s_delay_alu instid0(VALU_DEP_1) | instskip(SKIP_1) | instid1(VALU_DEP_2)
	v_dual_fmac_f32 v2, v146, v147 :: v_dual_sub_f32 v147, v124, v109
	v_sub_f32_e32 v146, v123, v108
	v_dual_sub_f32 v148, v125, v110 :: v_dual_mul_f32 v147, v147, v147
	s_delay_alu instid0(VALU_DEP_1) | instskip(NEXT) | instid1(VALU_DEP_1)
	v_fmac_f32_e32 v147, v146, v146
	v_fmac_f32_e32 v147, v148, v148
	s_delay_alu instid0(VALU_DEP_1) | instskip(SKIP_1) | instid1(VALU_DEP_1)
	v_cmp_gt_f32_e32 vcc_lo, 0xf800000, v147
	v_mul_f32_e32 v146, 0x4f800000, v147
	v_cndmask_b32_e32 v146, v147, v146, vcc_lo
	s_delay_alu instid0(VALU_DEP_1) | instskip(SKIP_2) | instid1(VALU_DEP_1)
	v_sqrt_f32_e32 v147, v146
	s_waitcnt_depctr 0xfff
	v_add_nc_u32_e32 v148, -1, v147
	v_fma_f32 v149, -v148, v147, v146
	s_delay_alu instid0(VALU_DEP_1) | instskip(SKIP_1) | instid1(VALU_DEP_2)
	v_cmp_ge_f32_e64 s6, 0, v149
	v_add_nc_u32_e32 v149, 1, v147
	v_cndmask_b32_e64 v148, v147, v148, s6
	s_delay_alu instid0(VALU_DEP_2) | instskip(NEXT) | instid1(VALU_DEP_1)
	v_fma_f32 v147, -v149, v147, v146
	v_cmp_lt_f32_e64 s6, 0, v147
	s_delay_alu instid0(VALU_DEP_1) | instskip(NEXT) | instid1(VALU_DEP_1)
	v_cndmask_b32_e64 v147, v148, v149, s6
	v_mul_f32_e32 v148, 0x37800000, v147
	s_delay_alu instid0(VALU_DEP_1) | instskip(SKIP_1) | instid1(VALU_DEP_2)
	v_cndmask_b32_e32 v147, v147, v148, vcc_lo
	v_cmp_class_f32_e64 vcc_lo, v146, 0x260
	v_cndmask_b32_e32 v146, v147, v146, vcc_lo
	s_delay_alu instid0(VALU_DEP_1) | instskip(SKIP_1) | instid1(VALU_DEP_2)
	v_sub_f32_e32 v147, v146, v145
	v_fma_f32 v146, -v142, v146, 1.0
	v_cmp_gt_f32_e32 vcc_lo, 0, v147
	v_cmp_lt_f32_e64 s6, v147, v140
	v_cndmask_b32_e64 v148, 0, 0x42980000, vcc_lo
	s_delay_alu instid0(VALU_DEP_1) | instskip(SKIP_1) | instid1(VALU_DEP_4)
	v_fmac_f32_e32 v3, v146, v148
	v_fma_f32 v146, -v141, v147, 1.0
	v_cndmask_b32_e64 v148, 0, 1.0, s6
	v_cmp_lt_f32_e64 s6, v147, v139
	s_delay_alu instid0(VALU_DEP_3) | instskip(NEXT) | instid1(VALU_DEP_2)
	v_cndmask_b32_e64 v146, v146, 1.0, vcc_lo
	s_and_b32 s6, s5, s6
	s_delay_alu instid0(VALU_DEP_1) | instskip(SKIP_1) | instid1(VALU_DEP_2)
	v_mul_f32_e32 v146, v148, v146
	v_sub_f32_e32 v148, v128, v110
	v_mul_f32_e32 v146, v144, v146
	s_delay_alu instid0(VALU_DEP_1) | instskip(NEXT) | instid1(VALU_DEP_1)
	v_cndmask_b32_e64 v146, v146, -|v146|, s22
	v_fmac_f32_e32 v3, 0x42340000, v146
	v_fma_f32 v146, -v143, v147, 1.0
	v_cndmask_b32_e64 v147, 0, 1.0, s6
	s_delay_alu instid0(VALU_DEP_2) | instskip(NEXT) | instid1(VALU_DEP_2)
	v_cndmask_b32_e64 v146, v146, 1.0, vcc_lo
	v_mul_f32_e32 v147, v111, v147
	s_delay_alu instid0(VALU_DEP_1) | instskip(SKIP_1) | instid1(VALU_DEP_1)
	v_fmac_f32_e32 v3, v146, v147
	v_dual_sub_f32 v147, v127, v109 :: v_dual_sub_f32 v146, v126, v108
	v_mul_f32_e32 v147, v147, v147
	s_delay_alu instid0(VALU_DEP_1) | instskip(NEXT) | instid1(VALU_DEP_1)
	v_fmac_f32_e32 v147, v146, v146
	v_fmac_f32_e32 v147, v148, v148
	s_delay_alu instid0(VALU_DEP_1) | instskip(SKIP_1) | instid1(VALU_DEP_1)
	v_cmp_gt_f32_e32 vcc_lo, 0xf800000, v147
	v_mul_f32_e32 v146, 0x4f800000, v147
	v_cndmask_b32_e32 v146, v147, v146, vcc_lo
	s_delay_alu instid0(VALU_DEP_1) | instskip(SKIP_2) | instid1(VALU_DEP_1)
	v_sqrt_f32_e32 v147, v146
	s_waitcnt_depctr 0xfff
	v_add_nc_u32_e32 v148, -1, v147
	v_fma_f32 v149, -v148, v147, v146
	s_delay_alu instid0(VALU_DEP_1) | instskip(SKIP_1) | instid1(VALU_DEP_2)
	v_cmp_ge_f32_e64 s6, 0, v149
	v_add_nc_u32_e32 v149, 1, v147
	v_cndmask_b32_e64 v148, v147, v148, s6
	s_delay_alu instid0(VALU_DEP_2) | instskip(NEXT) | instid1(VALU_DEP_1)
	v_fma_f32 v147, -v149, v147, v146
	v_cmp_lt_f32_e64 s6, 0, v147
	s_delay_alu instid0(VALU_DEP_1) | instskip(NEXT) | instid1(VALU_DEP_1)
	v_cndmask_b32_e64 v147, v148, v149, s6
	v_mul_f32_e32 v148, 0x37800000, v147
	s_delay_alu instid0(VALU_DEP_1) | instskip(SKIP_1) | instid1(VALU_DEP_2)
	v_cndmask_b32_e32 v147, v147, v148, vcc_lo
	v_cmp_class_f32_e64 vcc_lo, v146, 0x260
	v_cndmask_b32_e32 v146, v147, v146, vcc_lo
	s_delay_alu instid0(VALU_DEP_1) | instskip(SKIP_1) | instid1(VALU_DEP_2)
	v_sub_f32_e32 v147, v146, v145
	v_fma_f32 v146, -v142, v146, 1.0
	v_cmp_gt_f32_e32 vcc_lo, 0, v147
	v_cmp_lt_f32_e64 s6, v147, v140
	v_cndmask_b32_e64 v148, 0, 0x42980000, vcc_lo
	s_delay_alu instid0(VALU_DEP_1) | instskip(SKIP_1) | instid1(VALU_DEP_4)
	v_fmac_f32_e32 v4, v146, v148
	v_fma_f32 v146, -v141, v147, 1.0
	v_cndmask_b32_e64 v148, 0, 1.0, s6
	v_cmp_lt_f32_e64 s6, v147, v139
	s_delay_alu instid0(VALU_DEP_3) | instskip(NEXT) | instid1(VALU_DEP_2)
	v_cndmask_b32_e64 v146, v146, 1.0, vcc_lo
	s_and_b32 s6, s5, s6
	s_delay_alu instid0(VALU_DEP_1) | instskip(SKIP_1) | instid1(VALU_DEP_2)
	v_mul_f32_e32 v146, v148, v146
	v_sub_f32_e32 v148, v131, v110
	v_mul_f32_e32 v146, v144, v146
	s_delay_alu instid0(VALU_DEP_1) | instskip(NEXT) | instid1(VALU_DEP_1)
	v_cndmask_b32_e64 v146, v146, -|v146|, s22
	v_fmac_f32_e32 v4, 0x42340000, v146
	v_fma_f32 v146, -v143, v147, 1.0
	v_cndmask_b32_e64 v147, 0, 1.0, s6
	s_delay_alu instid0(VALU_DEP_2) | instskip(NEXT) | instid1(VALU_DEP_2)
	v_cndmask_b32_e64 v146, v146, 1.0, vcc_lo
	v_mul_f32_e32 v147, v111, v147
	s_delay_alu instid0(VALU_DEP_1) | instskip(SKIP_1) | instid1(VALU_DEP_1)
	v_fmac_f32_e32 v4, v146, v147
	v_dual_sub_f32 v147, v130, v109 :: v_dual_sub_f32 v146, v129, v108
	v_mul_f32_e32 v147, v147, v147
	s_delay_alu instid0(VALU_DEP_1) | instskip(NEXT) | instid1(VALU_DEP_1)
	v_fmac_f32_e32 v147, v146, v146
	v_fmac_f32_e32 v147, v148, v148
	s_delay_alu instid0(VALU_DEP_1) | instskip(SKIP_1) | instid1(VALU_DEP_1)
	v_cmp_gt_f32_e32 vcc_lo, 0xf800000, v147
	v_mul_f32_e32 v146, 0x4f800000, v147
	v_cndmask_b32_e32 v146, v147, v146, vcc_lo
	s_delay_alu instid0(VALU_DEP_1) | instskip(SKIP_2) | instid1(VALU_DEP_1)
	v_sqrt_f32_e32 v147, v146
	s_waitcnt_depctr 0xfff
	v_add_nc_u32_e32 v148, -1, v147
	v_fma_f32 v149, -v148, v147, v146
	s_delay_alu instid0(VALU_DEP_1) | instskip(SKIP_1) | instid1(VALU_DEP_2)
	v_cmp_ge_f32_e64 s6, 0, v149
	v_add_nc_u32_e32 v149, 1, v147
	v_cndmask_b32_e64 v148, v147, v148, s6
	s_delay_alu instid0(VALU_DEP_2) | instskip(NEXT) | instid1(VALU_DEP_1)
	v_fma_f32 v147, -v149, v147, v146
	v_cmp_lt_f32_e64 s6, 0, v147
	s_delay_alu instid0(VALU_DEP_1) | instskip(NEXT) | instid1(VALU_DEP_1)
	v_cndmask_b32_e64 v147, v148, v149, s6
	v_mul_f32_e32 v148, 0x37800000, v147
	s_delay_alu instid0(VALU_DEP_1) | instskip(SKIP_1) | instid1(VALU_DEP_2)
	v_cndmask_b32_e32 v147, v147, v148, vcc_lo
	v_cmp_class_f32_e64 vcc_lo, v146, 0x260
	v_cndmask_b32_e32 v146, v147, v146, vcc_lo
	s_delay_alu instid0(VALU_DEP_1) | instskip(SKIP_1) | instid1(VALU_DEP_2)
	v_sub_f32_e32 v147, v146, v145
	v_fma_f32 v146, -v142, v146, 1.0
	v_cmp_gt_f32_e32 vcc_lo, 0, v147
	v_cmp_lt_f32_e64 s6, v147, v140
	v_cndmask_b32_e64 v148, 0, 0x42980000, vcc_lo
	s_delay_alu instid0(VALU_DEP_1) | instskip(SKIP_1) | instid1(VALU_DEP_4)
	v_fmac_f32_e32 v5, v146, v148
	v_fma_f32 v146, -v141, v147, 1.0
	v_cndmask_b32_e64 v148, 0, 1.0, s6
	v_cmp_lt_f32_e64 s6, v147, v139
	s_delay_alu instid0(VALU_DEP_3) | instskip(NEXT) | instid1(VALU_DEP_2)
	v_cndmask_b32_e64 v146, v146, 1.0, vcc_lo
	s_and_b32 s6, s5, s6
	s_delay_alu instid0(VALU_DEP_1) | instskip(NEXT) | instid1(VALU_DEP_1)
	v_mul_f32_e32 v146, v148, v146
	v_mul_f32_e32 v146, v144, v146
	s_delay_alu instid0(VALU_DEP_1) | instskip(NEXT) | instid1(VALU_DEP_1)
	v_cndmask_b32_e64 v146, v146, -|v146|, s22
	v_fmac_f32_e32 v5, 0x42340000, v146
	v_fma_f32 v146, -v143, v147, 1.0
	v_cndmask_b32_e64 v147, 0, 1.0, s6
	s_delay_alu instid0(VALU_DEP_2) | instskip(NEXT) | instid1(VALU_DEP_2)
	v_cndmask_b32_e64 v146, v146, 1.0, vcc_lo
	v_mul_f32_e32 v147, v111, v147
	s_delay_alu instid0(VALU_DEP_1) | instskip(SKIP_2) | instid1(VALU_DEP_2)
	v_fmac_f32_e32 v5, v146, v147
	v_dual_sub_f32 v147, v133, v109 :: v_dual_sub_f32 v146, v132, v108
	v_dual_sub_f32 v148, v134, v110 :: v_dual_sub_f32 v109, v136, v109
	v_mul_f32_e32 v147, v147, v147
	s_delay_alu instid0(VALU_DEP_2) | instskip(NEXT) | instid1(VALU_DEP_2)
	v_mul_f32_e32 v109, v109, v109
	v_fmac_f32_e32 v147, v146, v146
	s_delay_alu instid0(VALU_DEP_1) | instskip(NEXT) | instid1(VALU_DEP_1)
	v_fmac_f32_e32 v147, v148, v148
	v_cmp_gt_f32_e32 vcc_lo, 0xf800000, v147
	v_mul_f32_e32 v146, 0x4f800000, v147
	s_delay_alu instid0(VALU_DEP_1) | instskip(NEXT) | instid1(VALU_DEP_1)
	v_cndmask_b32_e32 v146, v147, v146, vcc_lo
	v_sqrt_f32_e32 v147, v146
	s_waitcnt_depctr 0xfff
	v_add_nc_u32_e32 v148, -1, v147
	s_delay_alu instid0(VALU_DEP_1) | instskip(NEXT) | instid1(VALU_DEP_1)
	v_fma_f32 v149, -v148, v147, v146
	v_cmp_ge_f32_e64 s6, 0, v149
	v_add_nc_u32_e32 v149, 1, v147
	s_delay_alu instid0(VALU_DEP_2) | instskip(NEXT) | instid1(VALU_DEP_2)
	v_cndmask_b32_e64 v148, v147, v148, s6
	v_fma_f32 v147, -v149, v147, v146
	s_delay_alu instid0(VALU_DEP_1) | instskip(NEXT) | instid1(VALU_DEP_1)
	v_cmp_lt_f32_e64 s6, 0, v147
	v_cndmask_b32_e64 v147, v148, v149, s6
	s_delay_alu instid0(VALU_DEP_1) | instskip(NEXT) | instid1(VALU_DEP_1)
	v_mul_f32_e32 v148, 0x37800000, v147
	v_cndmask_b32_e32 v147, v147, v148, vcc_lo
	v_cmp_class_f32_e64 vcc_lo, v146, 0x260
	s_delay_alu instid0(VALU_DEP_2) | instskip(NEXT) | instid1(VALU_DEP_1)
	v_cndmask_b32_e32 v146, v147, v146, vcc_lo
	v_sub_f32_e32 v147, v146, v145
	v_fma_f32 v146, -v142, v146, 1.0
	s_delay_alu instid0(VALU_DEP_2) | instskip(SKIP_2) | instid1(VALU_DEP_1)
	v_cmp_gt_f32_e32 vcc_lo, 0, v147
	v_cmp_lt_f32_e64 s6, v147, v140
	v_cndmask_b32_e64 v148, 0, 0x42980000, vcc_lo
	v_fmac_f32_e32 v6, v146, v148
	v_fma_f32 v146, -v141, v147, 1.0
	s_delay_alu instid0(VALU_DEP_4) | instskip(SKIP_1) | instid1(VALU_DEP_3)
	v_cndmask_b32_e64 v148, 0, 1.0, s6
	v_cmp_lt_f32_e64 s6, v147, v139
	v_cndmask_b32_e64 v146, v146, 1.0, vcc_lo
	s_delay_alu instid0(VALU_DEP_2) | instskip(NEXT) | instid1(VALU_DEP_1)
	s_and_b32 s6, s5, s6
	v_mul_f32_e32 v146, v148, v146
	s_delay_alu instid0(VALU_DEP_1) | instskip(NEXT) | instid1(VALU_DEP_1)
	v_mul_f32_e32 v146, v144, v146
	v_cndmask_b32_e64 v146, v146, -|v146|, s22
	s_delay_alu instid0(VALU_DEP_1) | instskip(SKIP_2) | instid1(VALU_DEP_2)
	v_fmac_f32_e32 v6, 0x42340000, v146
	v_fma_f32 v146, -v143, v147, 1.0
	v_cndmask_b32_e64 v147, 0, 1.0, s6
	v_cndmask_b32_e64 v146, v146, 1.0, vcc_lo
	s_delay_alu instid0(VALU_DEP_2) | instskip(NEXT) | instid1(VALU_DEP_1)
	v_mul_f32_e32 v147, v111, v147
	v_fmac_f32_e32 v6, v146, v147
	v_sub_f32_e32 v146, v135, v108
	v_sub_f32_e32 v108, v137, v110
	s_delay_alu instid0(VALU_DEP_2) | instskip(NEXT) | instid1(VALU_DEP_1)
	v_fmac_f32_e32 v109, v146, v146
	v_fmac_f32_e32 v109, v108, v108
	s_delay_alu instid0(VALU_DEP_1) | instskip(SKIP_1) | instid1(VALU_DEP_1)
	v_cmp_gt_f32_e32 vcc_lo, 0xf800000, v109
	v_mul_f32_e32 v108, 0x4f800000, v109
	v_cndmask_b32_e32 v108, v109, v108, vcc_lo
	s_delay_alu instid0(VALU_DEP_1) | instskip(SKIP_2) | instid1(VALU_DEP_1)
	v_sqrt_f32_e32 v109, v108
	s_waitcnt_depctr 0xfff
	v_add_nc_u32_e32 v110, -1, v109
	v_fma_f32 v146, -v110, v109, v108
	s_delay_alu instid0(VALU_DEP_1) | instskip(SKIP_1) | instid1(VALU_DEP_2)
	v_cmp_ge_f32_e64 s6, 0, v146
	v_add_nc_u32_e32 v146, 1, v109
	v_cndmask_b32_e64 v110, v109, v110, s6
	s_delay_alu instid0(VALU_DEP_2) | instskip(NEXT) | instid1(VALU_DEP_1)
	v_fma_f32 v109, -v146, v109, v108
	v_cmp_lt_f32_e64 s6, 0, v109
	s_delay_alu instid0(VALU_DEP_1) | instskip(NEXT) | instid1(VALU_DEP_1)
	v_cndmask_b32_e64 v109, v110, v146, s6
	v_mul_f32_e32 v110, 0x37800000, v109
	s_delay_alu instid0(VALU_DEP_1) | instskip(SKIP_1) | instid1(VALU_DEP_2)
	v_cndmask_b32_e32 v109, v109, v110, vcc_lo
	v_cmp_class_f32_e64 vcc_lo, v108, 0x260
	v_cndmask_b32_e32 v108, v109, v108, vcc_lo
	s_delay_alu instid0(VALU_DEP_1) | instskip(SKIP_1) | instid1(VALU_DEP_2)
	v_sub_f32_e32 v109, v108, v145
	v_fma_f32 v108, -v142, v108, 1.0
	v_cmp_gt_f32_e32 vcc_lo, 0, v109
	v_cmp_lt_f32_e64 s6, v109, v140
	v_cndmask_b32_e64 v110, 0, 0x42980000, vcc_lo
	s_delay_alu instid0(VALU_DEP_1) | instskip(SKIP_1) | instid1(VALU_DEP_4)
	v_fmac_f32_e32 v7, v108, v110
	v_fma_f32 v108, -v141, v109, 1.0
	v_cndmask_b32_e64 v110, 0, 1.0, s6
	s_delay_alu instid0(VALU_DEP_2) | instskip(NEXT) | instid1(VALU_DEP_1)
	v_cndmask_b32_e64 v108, v108, 1.0, vcc_lo
	v_mul_f32_e32 v108, v110, v108
	v_cmp_lt_f32_e64 s6, v109, v139
	s_delay_alu instid0(VALU_DEP_2) | instskip(NEXT) | instid1(VALU_DEP_2)
	v_mul_f32_e32 v108, v144, v108
	s_and_b32 s5, s5, s6
	s_add_u32 s18, s18, 16
	s_addc_u32 s19, s19, 0
	s_add_i32 s21, s21, -1
	v_cndmask_b32_e64 v108, v108, -|v108|, s22
	s_cmp_lg_u32 s21, 0
	s_delay_alu instid0(VALU_DEP_1) | instskip(SKIP_2) | instid1(VALU_DEP_2)
	v_fmac_f32_e32 v7, 0x42340000, v108
	v_fma_f32 v108, -v143, v109, 1.0
	v_cndmask_b32_e64 v109, 0, 1.0, s5
	v_cndmask_b32_e64 v108, v108, 1.0, vcc_lo
	s_delay_alu instid0(VALU_DEP_2) | instskip(NEXT) | instid1(VALU_DEP_1)
	v_mul_f32_e32 v109, v111, v109
	v_fmac_f32_e32 v7, v108, v109
	s_cbranch_scc1 .LBB3_28
; %bb.29:                               ;   in Loop: Header=BB3_27 Depth=1
	s_add_i32 s16, s16, 1
	s_delay_alu instid0(SALU_CYCLE_1)
	s_cmp_lg_u32 s16, s20
	s_cbranch_scc1 .LBB3_27
; %bb.30:
	s_and_saveexec_b32 s0, s2
	s_cbranch_execz .LBB3_32
; %bb.31:
	v_dual_mov_b32 v113, 0 :: v_dual_mul_f32 v14, 0.5, v0
	v_dual_mul_f32 v15, 0.5, v1 :: v_dual_mul_f32 v2, 0.5, v2
	v_mul_f32_e32 v16, 0.5, v7
	s_delay_alu instid0(VALU_DEP_3) | instskip(SKIP_1) | instid1(VALU_DEP_1)
	v_lshlrev_b64 v[8:9], 2, v[112:113]
	v_add_nc_u32_e32 v112, s24, v112
	v_lshlrev_b64 v[0:1], 2, v[112:113]
	v_add_nc_u32_e32 v112, s24, v112
	s_delay_alu instid0(VALU_DEP_4) | instskip(SKIP_1) | instid1(VALU_DEP_3)
	v_add_co_u32 v8, vcc_lo, s12, v8
	v_add_co_ci_u32_e32 v9, vcc_lo, s13, v9, vcc_lo
	v_lshlrev_b64 v[10:11], 2, v[112:113]
	v_add_co_u32 v0, vcc_lo, s12, v0
	v_add_co_ci_u32_e32 v1, vcc_lo, s13, v1, vcc_lo
	s_delay_alu instid0(VALU_DEP_3) | instskip(NEXT) | instid1(VALU_DEP_4)
	v_add_co_u32 v10, vcc_lo, s12, v10
	v_add_co_ci_u32_e32 v11, vcc_lo, s13, v11, vcc_lo
	s_clause 0x2
	global_store_b32 v[8:9], v14, off
	global_store_b32 v[0:1], v15, off
	;; [unrolled: 1-line block ×3, first 2 shown]
	v_dual_mul_f32 v15, 0.5, v6 :: v_dual_add_nc_u32 v112, s24, v112
	v_mul_f32_e32 v14, 0.5, v3
	s_delay_alu instid0(VALU_DEP_2) | instskip(SKIP_1) | instid1(VALU_DEP_1)
	v_lshlrev_b64 v[12:13], 2, v[112:113]
	v_add_nc_u32_e32 v112, s24, v112
	v_lshlrev_b64 v[0:1], 2, v[112:113]
	v_add_nc_u32_e32 v112, s24, v112
	s_delay_alu instid0(VALU_DEP_4) | instskip(SKIP_1) | instid1(VALU_DEP_3)
	v_add_co_u32 v2, vcc_lo, s12, v12
	v_add_co_ci_u32_e32 v3, vcc_lo, s13, v13, vcc_lo
	v_lshlrev_b64 v[8:9], 2, v[112:113]
	v_add_nc_u32_e32 v112, s24, v112
	v_dual_mul_f32 v12, 0.5, v4 :: v_dual_mul_f32 v13, 0.5, v5
	v_add_co_u32 v0, vcc_lo, s12, v0
	s_delay_alu instid0(VALU_DEP_3) | instskip(SKIP_3) | instid1(VALU_DEP_3)
	v_lshlrev_b64 v[4:5], 2, v[112:113]
	v_add_nc_u32_e32 v112, s24, v112
	v_add_co_ci_u32_e32 v1, vcc_lo, s13, v1, vcc_lo
	v_add_co_u32 v8, vcc_lo, s12, v8
	v_lshlrev_b64 v[10:11], 2, v[112:113]
	v_add_co_ci_u32_e32 v9, vcc_lo, s13, v9, vcc_lo
	v_add_co_u32 v4, vcc_lo, s12, v4
	v_add_co_ci_u32_e32 v5, vcc_lo, s13, v5, vcc_lo
	s_delay_alu instid0(VALU_DEP_4)
	v_add_co_u32 v6, vcc_lo, s12, v10
	v_add_co_ci_u32_e32 v7, vcc_lo, s13, v11, vcc_lo
	s_clause 0x4
	global_store_b32 v[2:3], v14, off
	global_store_b32 v[0:1], v12, off
	;; [unrolled: 1-line block ×5, first 2 shown]
.LBB3_32:
	s_endpgm
	.section	.rodata,"a",@progbits
	.p2align	6, 0x0
	.amdhsa_kernel _ZL11fasten_mainILm8EEviiPK4AtomS2_PKfS4_S4_S4_S4_S4_PfPK8FFParamsi
		.amdhsa_group_segment_fixed_size 0
		.amdhsa_private_segment_fixed_size 400
		.amdhsa_kernarg_size 352
		.amdhsa_user_sgpr_count 15
		.amdhsa_user_sgpr_dispatch_ptr 0
		.amdhsa_user_sgpr_queue_ptr 0
		.amdhsa_user_sgpr_kernarg_segment_ptr 1
		.amdhsa_user_sgpr_dispatch_id 0
		.amdhsa_user_sgpr_private_segment_size 0
		.amdhsa_wavefront_size32 1
		.amdhsa_uses_dynamic_stack 0
		.amdhsa_enable_private_segment 1
		.amdhsa_system_sgpr_workgroup_id_x 1
		.amdhsa_system_sgpr_workgroup_id_y 0
		.amdhsa_system_sgpr_workgroup_id_z 0
		.amdhsa_system_sgpr_workgroup_info 0
		.amdhsa_system_vgpr_workitem_id 0
		.amdhsa_next_free_vgpr 151
		.amdhsa_next_free_sgpr 32
		.amdhsa_reserve_vcc 1
		.amdhsa_float_round_mode_32 0
		.amdhsa_float_round_mode_16_64 0
		.amdhsa_float_denorm_mode_32 3
		.amdhsa_float_denorm_mode_16_64 3
		.amdhsa_dx10_clamp 1
		.amdhsa_ieee_mode 1
		.amdhsa_fp16_overflow 0
		.amdhsa_workgroup_processor_mode 1
		.amdhsa_memory_ordered 1
		.amdhsa_forward_progress 0
		.amdhsa_shared_vgpr_count 0
		.amdhsa_exception_fp_ieee_invalid_op 0
		.amdhsa_exception_fp_denorm_src 0
		.amdhsa_exception_fp_ieee_div_zero 0
		.amdhsa_exception_fp_ieee_overflow 0
		.amdhsa_exception_fp_ieee_underflow 0
		.amdhsa_exception_fp_ieee_inexact 0
		.amdhsa_exception_int_div_zero 0
	.end_amdhsa_kernel
	.section	.text._ZL11fasten_mainILm8EEviiPK4AtomS2_PKfS4_S4_S4_S4_S4_PfPK8FFParamsi,"axG",@progbits,_ZL11fasten_mainILm8EEviiPK4AtomS2_PKfS4_S4_S4_S4_S4_PfPK8FFParamsi,comdat
.Lfunc_end3:
	.size	_ZL11fasten_mainILm8EEviiPK4AtomS2_PKfS4_S4_S4_S4_S4_PfPK8FFParamsi, .Lfunc_end3-_ZL11fasten_mainILm8EEviiPK4AtomS2_PKfS4_S4_S4_S4_S4_PfPK8FFParamsi
                                        ; -- End function
	.section	.AMDGPU.csdata,"",@progbits
; Kernel info:
; codeLenInByte = 9924
; NumSgprs: 34
; NumVgprs: 151
; ScratchSize: 400
; MemoryBound: 0
; FloatMode: 240
; IeeeMode: 1
; LDSByteSize: 0 bytes/workgroup (compile time only)
; SGPRBlocks: 4
; VGPRBlocks: 18
; NumSGPRsForWavesPerEU: 34
; NumVGPRsForWavesPerEU: 151
; Occupancy: 9
; WaveLimiterHint : 1
; COMPUTE_PGM_RSRC2:SCRATCH_EN: 1
; COMPUTE_PGM_RSRC2:USER_SGPR: 15
; COMPUTE_PGM_RSRC2:TRAP_HANDLER: 0
; COMPUTE_PGM_RSRC2:TGID_X_EN: 1
; COMPUTE_PGM_RSRC2:TGID_Y_EN: 0
; COMPUTE_PGM_RSRC2:TGID_Z_EN: 0
; COMPUTE_PGM_RSRC2:TIDIG_COMP_CNT: 0
	.section	.text._ZL11fasten_mainILm16EEviiPK4AtomS2_PKfS4_S4_S4_S4_S4_PfPK8FFParamsi,"axG",@progbits,_ZL11fasten_mainILm16EEviiPK4AtomS2_PKfS4_S4_S4_S4_S4_PfPK8FFParamsi,comdat
	.globl	_ZL11fasten_mainILm16EEviiPK4AtomS2_PKfS4_S4_S4_S4_S4_PfPK8FFParamsi ; -- Begin function _ZL11fasten_mainILm16EEviiPK4AtomS2_PKfS4_S4_S4_S4_S4_PfPK8FFParamsi
	.p2align	8
	.type	_ZL11fasten_mainILm16EEviiPK4AtomS2_PKfS4_S4_S4_S4_S4_PfPK8FFParamsi,@function
_ZL11fasten_mainILm16EEviiPK4AtomS2_PKfS4_S4_S4_S4_S4_PfPK8FFParamsi: ; @_ZL11fasten_mainILm16EEviiPK4AtomS2_PKfS4_S4_S4_S4_S4_PfPK8FFParamsi
; %bb.0:
	s_clause 0x1
	s_load_b32 s2, s[0:1], 0x6c
	s_load_b32 s3, s[0:1], 0x58
	s_mov_b32 s25, 0
	s_mov_b64 s[6:7], 0
	s_mov_b32 s27, 0x7fffff
	s_mov_b32 s28, 0xb94c1982
	;; [unrolled: 1-line block ×3, first 2 shown]
	v_mov_b32_e32 v19, 0
	s_waitcnt lgkmcnt(0)
	s_and_b32 s24, s2, 0xffff
	s_add_i32 s4, s3, -16
	s_mul_i32 s15, s15, s24
	s_lshl_b32 s26, s24, 2
	v_lshl_add_u32 v1, s15, 4, v0
	s_load_b512 s[8:23], s[0:1], 0x8
	s_delay_alu instid0(VALU_DEP_1) | instskip(SKIP_3) | instid1(VALU_DEP_1)
	v_cmp_gt_i32_e64 s2, s3, v1
	v_mov_b32_e32 v0, v1
	scratch_store_b64 off, v[0:1], off offset:1536 ; 8-byte Folded Spill
	v_cndmask_b32_e64 v0, s4, v1, s2
	v_ashrrev_i32_e32 v1, 31, v0
	s_delay_alu instid0(VALU_DEP_1)
	v_lshlrev_b64 v[16:17], 2, v[0:1]
                                        ; implicit-def: $vgpr0
	s_branch .LBB4_2
.LBB4_1:                                ;   in Loop: Header=BB4_2 Depth=1
	s_or_b32 exec_lo, exec_lo, s3
	v_add_co_u32 v38, vcc_lo, s18, v16
	v_add_co_ci_u32_e32 v39, vcc_lo, s19, v17, vcc_lo
	v_add_co_u32 v40, vcc_lo, s20, v16
	v_add_co_ci_u32_e32 v41, vcc_lo, s21, v17, vcc_lo
	;; [unrolled: 2-line block ×3, first 2 shown]
	global_load_b32 v36, v[38:39], off
	global_load_b32 v40, v[40:41], off
	;; [unrolled: 1-line block ×3, first 2 shown]
	v_dual_mul_f32 v48, v22, v22 :: v_dual_and_b32 v45, 1, v29
	v_dual_mul_f32 v50, v18, v18 :: v_dual_lshlrev_b32 v29, 30, v29
	v_mul_f32_e32 v43, v28, v28
	v_add_nc_u32_e64 v52, s25, 0
	v_dual_mul_f32 v41, v30, v30 :: v_dual_and_b32 v42, 1, v32
	s_delay_alu instid0(VALU_DEP_4) | instskip(SKIP_2) | instid1(VALU_DEP_4)
	v_fmaak_f32 v63, s28, v50, 0x3c0881c4
	v_and_b32_e32 v47, 1, v26
	v_lshlrev_b32_e32 v26, 30, v26
	v_fmaak_f32 v56, s29, v41, 0xbab64f3b
	v_dual_fmaak_f32 v58, s29, v43, 0xbab64f3b :: v_dual_and_b32 v51, 1, v37
	v_fmaak_f32 v63, v50, v63, 0xbe2aaa9d
	v_dual_mul_f32 v38, v34, v34 :: v_dual_and_b32 v39, 1, v35
	s_delay_alu instid0(VALU_DEP_3) | instskip(NEXT) | instid1(VALU_DEP_3)
	v_dual_fmaak_f32 v58, v43, v58, 0x3d2aabf7 :: v_dual_and_b32 v49, 1, v23
	v_mul_f32_e32 v63, v50, v63
	v_fmaak_f32 v61, s28, v48, 0x3c0881c4
	s_delay_alu instid0(VALU_DEP_4) | instskip(SKIP_1) | instid1(VALU_DEP_3)
	v_dual_fmaak_f32 v54, s29, v38, 0xbab64f3b :: v_dual_lshlrev_b32 v35, 30, v35
	v_mul_f32_e32 v46, v24, v24
	v_dual_fmac_f32 v18, v18, v63 :: v_dual_fmaak_f32 v61, v48, v61, 0xbe2aaa9d
	s_delay_alu instid0(VALU_DEP_3) | instskip(SKIP_2) | instid1(VALU_DEP_4)
	v_dual_fmaak_f32 v54, v38, v54, 0x3d2aabf7 :: v_dual_lshlrev_b32 v37, 30, v37
	v_fmaak_f32 v62, s29, v48, 0xbab64f3b
	v_dual_fmaak_f32 v53, s28, v38, 0x3c0881c4 :: v_dual_lshlrev_b32 v32, 30, v32
	v_mul_f32_e32 v61, v48, v61
	v_fmaak_f32 v57, s28, v43, 0x3c0881c4
	s_delay_alu instid0(VALU_DEP_4)
	v_fmaak_f32 v62, v48, v62, 0x3d2aabf7
	v_dual_fmaak_f32 v54, v38, v54, 0xbf000004 :: v_dual_lshlrev_b32 v23, 30, v23
	v_fmaak_f32 v60, s29, v46, 0xbab64f3b
	v_fmac_f32_e32 v22, v22, v61
	v_fmaak_f32 v57, v43, v57, 0xbe2aaa9d
	v_fmaak_f32 v64, s29, v50, 0xbab64f3b
	;; [unrolled: 1-line block ×3, first 2 shown]
	v_cmp_eq_u32_e32 vcc_lo, 0, v39
	s_delay_alu instid0(VALU_DEP_4) | instskip(SKIP_1) | instid1(VALU_DEP_4)
	v_dual_fmaak_f32 v60, v46, v60, 0x3d2aabf7 :: v_dual_mul_f32 v57, v43, v57
	v_fmaak_f32 v59, s28, v46, 0x3c0881c4
	v_fma_f32 v48, v48, v62, 1.0
	v_fmaak_f32 v53, v38, v53, 0xbe2aaa9d
	v_and_b32_e32 v32, 0x80000000, v32
	s_delay_alu instid0(VALU_DEP_4) | instskip(NEXT) | instid1(VALU_DEP_3)
	v_dual_fmac_f32 v28, v28, v57 :: v_dual_fmaak_f32 v59, v46, v59, 0xbe2aaa9d
	v_dual_fmaak_f32 v56, v41, v56, 0x3d2aabf7 :: v_dual_mul_f32 v53, v38, v53
	v_and_b32_e32 v35, 0x80000000, v35
	v_fma_f32 v38, v38, v54, 1.0
	s_delay_alu instid0(VALU_DEP_4) | instskip(SKIP_3) | instid1(VALU_DEP_4)
	v_mul_f32_e32 v59, v46, v59
	v_fmaak_f32 v55, s28, v41, 0x3c0881c4
	v_fmaak_f32 v56, v41, v56, 0xbf000004
	v_dual_fmac_f32 v34, v34, v53 :: v_dual_and_b32 v23, 0x80000000, v23
	v_fmac_f32_e32 v24, v24, v59
	s_delay_alu instid0(VALU_DEP_4)
	v_fmaak_f32 v55, v41, v55, 0xbe2aaa9d
	v_and_b32_e32 v26, 0x80000000, v26
	v_fmaak_f32 v58, v43, v58, 0xbf000004
	v_cndmask_b32_e32 v34, v38, v34, vcc_lo
	v_cmp_eq_u32_e32 vcc_lo, 0, v42
	v_mul_f32_e32 v55, v41, v55
	v_and_b32_e32 v29, 0x80000000, v29
	v_fma_f32 v41, v41, v56, 1.0
	v_fmaak_f32 v60, v46, v60, 0xbf000004
	v_fma_f32 v43, v43, v58, 1.0
	v_fmac_f32_e32 v30, v30, v55
	v_xor_b32_e32 v33, v33, v31
	v_xor_b32_e32 v21, v21, v20
	v_fma_f32 v46, v46, v60, 1.0
	v_cmp_class_f32_e64 s3, v20, 0x1f8
	v_cndmask_b32_e64 v30, -v30, v41, vcc_lo
	v_cmp_eq_u32_e32 vcc_lo, 0, v45
	v_and_b32_e32 v37, 0x80000000, v37
	v_xor3_b32 v33, v33, v35, v34
	v_cmp_class_f32_e64 s4, v31, 0x1f8
	v_xor_b32_e32 v27, v27, v25
	v_cndmask_b32_e32 v28, v43, v28, vcc_lo
	v_cmp_eq_u32_e32 vcc_lo, 0, v47
	v_xor_b32_e32 v30, v32, v30
	s_add_i32 s5, s25, 0
	s_add_i32 s25, s25, 48
	s_mov_b32 m0, s6
	v_cndmask_b32_e64 v24, -v24, v46, vcc_lo
	v_cmp_eq_u32_e32 vcc_lo, 0, v49
	s_add_u32 s6, s6, 1
	s_addc_u32 s7, s7, 0
	s_cmpk_lg_i32 s25, 0x300
	v_xor_b32_e32 v24, v26, v24
	v_cndmask_b32_e32 v22, v48, v22, vcc_lo
	v_cmp_eq_u32_e32 vcc_lo, 0, v51
	v_add_nc_u32_e32 v26, 32, v52
	v_movreld_b32_e32 v0, 0
	v_cndmask_b32_e64 v24, 0x7fc00000, v24, s3
	v_xor3_b32 v20, v21, v23, v22
	v_cndmask_b32_e64 v21, 0x7fc00000, v33, s4
	v_fmaak_f32 v64, v50, v64, 0x3d2aabf7
	s_delay_alu instid0(VALU_DEP_3) | instskip(NEXT) | instid1(VALU_DEP_2)
	v_cndmask_b32_e64 v20, 0x7fc00000, v20, s3
	v_fmaak_f32 v64, v50, v64, 0xbf000004
	s_delay_alu instid0(VALU_DEP_1) | instskip(NEXT) | instid1(VALU_DEP_1)
	v_fma_f32 v50, v50, v64, 1.0
	v_cndmask_b32_e64 v18, -v18, v50, vcc_lo
	v_cmp_class_f32_e64 vcc_lo, v25, 0x1f8
	v_xor3_b32 v25, v27, v29, v28
	v_mul_f32_e32 v29, v24, v21
	s_delay_alu instid0(VALU_DEP_4) | instskip(SKIP_1) | instid1(VALU_DEP_4)
	v_xor_b32_e32 v18, v37, v18
	v_cndmask_b32_e32 v22, 0x7fc00000, v30, vcc_lo
	v_cndmask_b32_e32 v23, 0x7fc00000, v25, vcc_lo
	v_add_co_u32 v16, vcc_lo, v16, s26
	s_delay_alu instid0(VALU_DEP_4) | instskip(NEXT) | instid1(VALU_DEP_4)
	v_cndmask_b32_e64 v18, 0x7fc00000, v18, s4
	v_mul_f32_e32 v43, v24, v22
	s_delay_alu instid0(VALU_DEP_4) | instskip(SKIP_3) | instid1(VALU_DEP_4)
	v_mul_f32_e32 v28, v24, v23
	v_mul_f32_e32 v27, v20, v23
	v_add_co_ci_u32_e32 v17, vcc_lo, 0, v17, vcc_lo
	v_mul_f32_e32 v38, v24, v18
	v_mul_f32_e32 v35, v28, v18
	;; [unrolled: 1-line block ×4, first 2 shown]
	v_fma_f32 v34, v27, v18, -v29
	v_add_nc_u32_e32 v25, 16, v52
	v_fmac_f32_e32 v35, v20, v21
	v_mul_f32_e32 v37, v22, v21
	v_fmac_f32_e32 v38, v27, v21
	v_fma_f32 v39, v28, v21, -v30
	v_xor_b32_e32 v41, 0x80000000, v23
	v_mul_f32_e32 v42, v20, v22
	s_waitcnt vmcnt(2)
	scratch_store_b128 off, v[33:36], s5
	s_waitcnt vmcnt(1)
	scratch_store_b128 v25, v[37:40], off
	s_waitcnt vmcnt(0)
	scratch_store_b128 v26, v[41:44], off
	s_cbranch_scc0 .LBB4_26
.LBB4_2:                                ; =>This Inner Loop Header: Depth=1
	s_waitcnt lgkmcnt(0)
	s_delay_alu instid0(VALU_DEP_1) | instskip(NEXT) | instid1(VALU_DEP_2)
	v_add_co_u32 v20, vcc_lo, s12, v16
	v_add_co_ci_u32_e32 v21, vcc_lo, s13, v17, vcc_lo
                                        ; implicit-def: $vgpr23
                                        ; implicit-def: $vgpr22
	global_load_b32 v20, v[20:21], off
	s_waitcnt vmcnt(0)
	v_and_b32_e32 v21, 0x7fffffff, v20
	v_cmp_ngt_f32_e64 s30, 0x48000000, |v20|
	s_delay_alu instid0(VALU_DEP_2) | instskip(SKIP_1) | instid1(VALU_DEP_2)
	v_lshrrev_b32_e32 v18, 23, v21
	v_and_or_b32 v25, v21, s27, 0x800000
	v_add_nc_u32_e32 v27, 0xffffff88, v18
	s_delay_alu instid0(VALU_DEP_4) | instskip(NEXT) | instid1(SALU_CYCLE_1)
	s_and_saveexec_b32 s3, s30
	s_xor_b32 s31, exec_lo, s3
	s_cbranch_execz .LBB4_4
; %bb.3:                                ;   in Loop: Header=BB4_2 Depth=1
	v_mad_u64_u32 v[22:23], null, 0xfe5163ab, v25, 0
	v_cmp_lt_u32_e32 vcc_lo, 63, v27
	s_delay_alu instid0(VALU_DEP_2) | instskip(NEXT) | instid1(VALU_DEP_1)
	v_mov_b32_e32 v18, v23
	v_mad_u64_u32 v[23:24], null, 0x3c439041, v25, v[18:19]
	s_delay_alu instid0(VALU_DEP_1) | instskip(SKIP_1) | instid1(VALU_DEP_2)
	v_mov_b32_e32 v18, v24
	v_cndmask_b32_e64 v24, 0, 0xffffffc0, vcc_lo
	v_mad_u64_u32 v[28:29], null, 0xdb629599, v25, v[18:19]
	s_delay_alu instid0(VALU_DEP_2) | instskip(NEXT) | instid1(VALU_DEP_1)
	v_add_nc_u32_e32 v24, v24, v27
	v_cmp_lt_u32_e64 s3, 31, v24
	s_delay_alu instid0(VALU_DEP_3) | instskip(NEXT) | instid1(VALU_DEP_4)
	v_mov_b32_e32 v18, v29
	v_cndmask_b32_e32 v22, v28, v22, vcc_lo
	s_delay_alu instid0(VALU_DEP_3) | instskip(NEXT) | instid1(VALU_DEP_3)
	v_cndmask_b32_e64 v26, 0, 0xffffffe0, s3
	v_mad_u64_u32 v[29:30], null, 0xf534ddc0, v25, v[18:19]
	s_delay_alu instid0(VALU_DEP_2) | instskip(NEXT) | instid1(VALU_DEP_2)
	v_add_nc_u32_e32 v24, v26, v24
	v_mov_b32_e32 v18, v30
	s_delay_alu instid0(VALU_DEP_2) | instskip(NEXT) | instid1(VALU_DEP_4)
	v_cmp_lt_u32_e64 s4, 31, v24
	v_cndmask_b32_e32 v23, v29, v23, vcc_lo
	s_delay_alu instid0(VALU_DEP_3) | instskip(NEXT) | instid1(VALU_DEP_2)
	v_mad_u64_u32 v[30:31], null, 0xfc2757d1, v25, v[18:19]
	v_cndmask_b32_e64 v22, v23, v22, s3
	s_delay_alu instid0(VALU_DEP_2) | instskip(NEXT) | instid1(VALU_DEP_1)
	v_mov_b32_e32 v18, v31
	v_mad_u64_u32 v[31:32], null, 0x4e441529, v25, v[18:19]
	s_delay_alu instid0(VALU_DEP_1) | instskip(NEXT) | instid1(VALU_DEP_2)
	v_mov_b32_e32 v18, v32
	v_cndmask_b32_e32 v26, v31, v29, vcc_lo
	s_delay_alu instid0(VALU_DEP_2) | instskip(SKIP_1) | instid1(VALU_DEP_1)
	v_mad_u64_u32 v[32:33], null, 0xa2f9836e, v25, v[18:19]
	v_cndmask_b32_e64 v18, 0, 0xffffffe0, s4
	v_add_nc_u32_e32 v18, v18, v24
	s_delay_alu instid0(VALU_DEP_3) | instskip(SKIP_1) | instid1(VALU_DEP_3)
	v_dual_cndmask_b32 v32, v32, v30 :: v_dual_cndmask_b32 v31, v33, v31
	v_cndmask_b32_e32 v30, v30, v28, vcc_lo
	v_cmp_eq_u32_e64 s5, 0, v18
	s_delay_alu instid0(VALU_DEP_3) | instskip(NEXT) | instid1(VALU_DEP_4)
	v_cndmask_b32_e64 v24, v32, v26, s3
	v_cndmask_b32_e64 v29, v31, v32, s3
	s_delay_alu instid0(VALU_DEP_4) | instskip(SKIP_2) | instid1(VALU_DEP_4)
	v_cndmask_b32_e64 v26, v26, v30, s3
	v_sub_nc_u32_e32 v31, 32, v18
	v_cndmask_b32_e64 v30, v30, v23, s3
	v_cndmask_b32_e64 v29, v29, v24, s4
	s_delay_alu instid0(VALU_DEP_4) | instskip(NEXT) | instid1(VALU_DEP_3)
	v_cndmask_b32_e64 v24, v24, v26, s4
	v_cndmask_b32_e64 v26, v26, v30, s4
	;; [unrolled: 1-line block ×3, first 2 shown]
	s_delay_alu instid0(VALU_DEP_3) | instskip(NEXT) | instid1(VALU_DEP_3)
	v_alignbit_b32 v32, v29, v24, v31
	v_alignbit_b32 v33, v24, v26, v31
	s_delay_alu instid0(VALU_DEP_3) | instskip(NEXT) | instid1(VALU_DEP_3)
	v_alignbit_b32 v31, v26, v22, v31
	v_cndmask_b32_e64 v18, v32, v29, s5
	s_delay_alu instid0(VALU_DEP_3) | instskip(NEXT) | instid1(VALU_DEP_3)
	v_cndmask_b32_e64 v24, v33, v24, s5
	v_cndmask_b32_e64 v26, v31, v26, s5
	s_delay_alu instid0(VALU_DEP_3) | instskip(NEXT) | instid1(VALU_DEP_3)
	v_bfe_u32 v28, v18, 29, 1
	v_alignbit_b32 v23, v18, v24, 30
	s_delay_alu instid0(VALU_DEP_3) | instskip(SKIP_1) | instid1(VALU_DEP_4)
	v_alignbit_b32 v24, v24, v26, 30
	v_alignbit_b32 v22, v26, v22, 30
	v_sub_nc_u32_e32 v29, 0, v28
	s_delay_alu instid0(VALU_DEP_1) | instskip(SKIP_3) | instid1(VALU_DEP_4)
	v_xor_b32_e32 v30, v23, v29
	v_cmp_ne_u32_e32 vcc_lo, v23, v29
	v_xor_b32_e32 v24, v24, v29
	v_xor_b32_e32 v22, v22, v29
	v_clz_i32_u32_e32 v32, v30
	s_delay_alu instid0(VALU_DEP_1) | instskip(NEXT) | instid1(VALU_DEP_1)
	v_add_nc_u32_e32 v31, 1, v32
	v_cndmask_b32_e32 v23, 33, v31, vcc_lo
	s_delay_alu instid0(VALU_DEP_1) | instskip(NEXT) | instid1(VALU_DEP_1)
	v_sub_nc_u32_e32 v26, 32, v23
	v_alignbit_b32 v29, v30, v24, v26
	v_alignbit_b32 v22, v24, v22, v26
	v_lshrrev_b32_e32 v24, 29, v18
	v_lshrrev_b32_e32 v18, 30, v18
	s_delay_alu instid0(VALU_DEP_3) | instskip(NEXT) | instid1(VALU_DEP_3)
	v_alignbit_b32 v26, v29, v22, 9
	v_lshlrev_b32_e32 v24, 31, v24
	v_alignbit_b32 v29, v23, v29, 9
	s_delay_alu instid0(VALU_DEP_3) | instskip(NEXT) | instid1(VALU_DEP_2)
	v_clz_i32_u32_e32 v30, v26
	v_or_b32_e32 v29, v29, v24
	v_or_b32_e32 v24, 0x33800000, v24
	s_delay_alu instid0(VALU_DEP_3) | instskip(NEXT) | instid1(VALU_DEP_3)
	v_min_u32_e32 v30, 32, v30
	v_xor_b32_e32 v29, 1.0, v29
	s_delay_alu instid0(VALU_DEP_2) | instskip(SKIP_1) | instid1(VALU_DEP_3)
	v_sub_nc_u32_e32 v31, 31, v30
	v_add_lshl_u32 v23, v30, v23, 23
	v_mul_f32_e32 v30, 0x3fc90fda, v29
	s_delay_alu instid0(VALU_DEP_3) | instskip(NEXT) | instid1(VALU_DEP_3)
	v_alignbit_b32 v22, v26, v22, v31
	v_sub_nc_u32_e32 v23, v24, v23
	s_delay_alu instid0(VALU_DEP_3) | instskip(NEXT) | instid1(VALU_DEP_3)
	v_fma_f32 v24, 0x3fc90fda, v29, -v30
	v_lshrrev_b32_e32 v22, 9, v22
	s_delay_alu instid0(VALU_DEP_2) | instskip(NEXT) | instid1(VALU_DEP_2)
	v_fmac_f32_e32 v24, 0x33a22168, v29
	v_or_b32_e32 v22, v23, v22
	v_add_nc_u32_e32 v23, v28, v18
	s_delay_alu instid0(VALU_DEP_2) | instskip(NEXT) | instid1(VALU_DEP_1)
	v_fmac_f32_e32 v24, 0x3fc90fda, v22
	v_add_f32_e32 v22, v30, v24
.LBB4_4:                                ;   in Loop: Header=BB4_2 Depth=1
	s_or_saveexec_b32 s3, s31
	v_mul_f32_e64 v18, 0x3f22f983, |v20|
	s_delay_alu instid0(VALU_DEP_1)
	v_rndne_f32_e32 v18, v18
	s_xor_b32 exec_lo, exec_lo, s3
; %bb.5:                                ;   in Loop: Header=BB4_2 Depth=1
	s_delay_alu instid0(VALU_DEP_1) | instskip(SKIP_1) | instid1(VALU_DEP_2)
	v_fma_f32 v22, 0xbfc90fda, v18, |v20|
	v_cvt_i32_f32_e32 v23, v18
	v_fmac_f32_e32 v22, 0xb3a22168, v18
	s_delay_alu instid0(VALU_DEP_1)
	v_fmac_f32_e32 v22, 0xa7c234c4, v18
; %bb.6:                                ;   in Loop: Header=BB4_2 Depth=1
	s_or_b32 exec_lo, exec_lo, s3
                                        ; implicit-def: $vgpr26
                                        ; implicit-def: $vgpr24
	s_and_saveexec_b32 s3, s30
	s_delay_alu instid0(SALU_CYCLE_1)
	s_xor_b32 s30, exec_lo, s3
	s_cbranch_execz .LBB4_8
; %bb.7:                                ;   in Loop: Header=BB4_2 Depth=1
	v_mad_u64_u32 v[28:29], null, 0xfe5163ab, v25, 0
	v_cmp_lt_u32_e32 vcc_lo, 63, v27
	v_cndmask_b32_e64 v24, 0, 0xffffffc0, vcc_lo
	s_delay_alu instid0(VALU_DEP_3) | instskip(NEXT) | instid1(VALU_DEP_2)
	v_mov_b32_e32 v18, v29
	v_add_nc_u32_e32 v24, v24, v27
	s_delay_alu instid0(VALU_DEP_2) | instskip(NEXT) | instid1(VALU_DEP_2)
	v_mad_u64_u32 v[29:30], null, 0x3c439041, v25, v[18:19]
	v_cmp_lt_u32_e64 s3, 31, v24
	s_delay_alu instid0(VALU_DEP_2) | instskip(NEXT) | instid1(VALU_DEP_1)
	v_mov_b32_e32 v18, v30
	v_mad_u64_u32 v[30:31], null, 0xdb629599, v25, v[18:19]
	s_delay_alu instid0(VALU_DEP_1) | instskip(NEXT) | instid1(VALU_DEP_1)
	v_mov_b32_e32 v18, v31
	v_mad_u64_u32 v[31:32], null, 0xf534ddc0, v25, v[18:19]
	s_delay_alu instid0(VALU_DEP_1) | instskip(NEXT) | instid1(VALU_DEP_1)
	v_mov_b32_e32 v18, v32
	v_mad_u64_u32 v[32:33], null, 0xfc2757d1, v25, v[18:19]
	s_delay_alu instid0(VALU_DEP_1) | instskip(SKIP_1) | instid1(VALU_DEP_2)
	v_mov_b32_e32 v18, v33
	v_cndmask_b32_e64 v33, 0, 0xffffffe0, s3
	v_mad_u64_u32 v[26:27], null, 0x4e441529, v25, v[18:19]
	s_delay_alu instid0(VALU_DEP_2) | instskip(NEXT) | instid1(VALU_DEP_1)
	v_add_nc_u32_e32 v24, v33, v24
	v_cmp_lt_u32_e64 s4, 31, v24
	s_delay_alu instid0(VALU_DEP_3) | instskip(NEXT) | instid1(VALU_DEP_1)
	v_mov_b32_e32 v18, v27
	v_mad_u64_u32 v[33:34], null, 0xa2f9836e, v25, v[18:19]
	s_delay_alu instid0(VALU_DEP_3) | instskip(SKIP_1) | instid1(VALU_DEP_2)
	v_cndmask_b32_e64 v18, 0, 0xffffffe0, s4
	v_cndmask_b32_e32 v25, v26, v31, vcc_lo
	v_add_nc_u32_e32 v18, v18, v24
	s_delay_alu instid0(VALU_DEP_4) | instskip(SKIP_2) | instid1(VALU_DEP_4)
	v_dual_cndmask_b32 v27, v33, v32 :: v_dual_cndmask_b32 v26, v34, v26
	v_cndmask_b32_e32 v32, v32, v30, vcc_lo
	v_cndmask_b32_e32 v24, v31, v29, vcc_lo
	v_cmp_eq_u32_e64 s5, 0, v18
	s_delay_alu instid0(VALU_DEP_4) | instskip(SKIP_4) | instid1(VALU_DEP_4)
	v_cndmask_b32_e64 v29, v27, v25, s3
	v_cndmask_b32_e64 v26, v26, v27, s3
	v_cndmask_b32_e64 v25, v25, v32, s3
	v_sub_nc_u32_e32 v27, 32, v18
	v_cndmask_b32_e64 v31, v32, v24, s3
	v_cndmask_b32_e64 v26, v26, v29, s4
	s_delay_alu instid0(VALU_DEP_4) | instskip(NEXT) | instid1(VALU_DEP_3)
	v_cndmask_b32_e64 v29, v29, v25, s4
	v_cndmask_b32_e64 v25, v25, v31, s4
	s_delay_alu instid0(VALU_DEP_2) | instskip(NEXT) | instid1(VALU_DEP_2)
	v_alignbit_b32 v32, v26, v29, v27
	v_alignbit_b32 v33, v29, v25, v27
	s_delay_alu instid0(VALU_DEP_2) | instskip(SKIP_1) | instid1(VALU_DEP_3)
	v_cndmask_b32_e64 v18, v32, v26, s5
	v_cndmask_b32_e32 v26, v30, v28, vcc_lo
	v_cndmask_b32_e64 v28, v33, v29, s5
	s_delay_alu instid0(VALU_DEP_3) | instskip(NEXT) | instid1(VALU_DEP_3)
	v_bfe_u32 v29, v18, 29, 1
	v_cndmask_b32_e64 v24, v24, v26, s3
	s_delay_alu instid0(VALU_DEP_3) | instskip(NEXT) | instid1(VALU_DEP_3)
	v_alignbit_b32 v26, v18, v28, 30
	v_sub_nc_u32_e32 v30, 0, v29
	s_delay_alu instid0(VALU_DEP_3) | instskip(NEXT) | instid1(VALU_DEP_2)
	v_cndmask_b32_e64 v24, v31, v24, s4
	v_xor_b32_e32 v31, v26, v30
	s_delay_alu instid0(VALU_DEP_2) | instskip(SKIP_1) | instid1(VALU_DEP_3)
	v_alignbit_b32 v27, v25, v24, v27
	v_cmp_ne_u32_e32 vcc_lo, v26, v30
	v_clz_i32_u32_e32 v32, v31
	s_delay_alu instid0(VALU_DEP_3) | instskip(NEXT) | instid1(VALU_DEP_2)
	v_cndmask_b32_e64 v25, v27, v25, s5
	v_add_nc_u32_e32 v27, 1, v32
	s_delay_alu instid0(VALU_DEP_2) | instskip(SKIP_1) | instid1(VALU_DEP_3)
	v_alignbit_b32 v28, v28, v25, 30
	v_alignbit_b32 v24, v25, v24, 30
	v_cndmask_b32_e32 v26, 33, v27, vcc_lo
	s_delay_alu instid0(VALU_DEP_3) | instskip(NEXT) | instid1(VALU_DEP_3)
	v_xor_b32_e32 v25, v28, v30
	v_xor_b32_e32 v24, v24, v30
	s_delay_alu instid0(VALU_DEP_3) | instskip(NEXT) | instid1(VALU_DEP_1)
	v_sub_nc_u32_e32 v27, 32, v26
	v_alignbit_b32 v28, v31, v25, v27
	s_delay_alu instid0(VALU_DEP_3) | instskip(SKIP_2) | instid1(VALU_DEP_3)
	v_alignbit_b32 v24, v25, v24, v27
	v_lshrrev_b32_e32 v25, 29, v18
	v_lshrrev_b32_e32 v18, 30, v18
	v_alignbit_b32 v27, v28, v24, 9
	s_delay_alu instid0(VALU_DEP_3) | instskip(SKIP_1) | instid1(VALU_DEP_3)
	v_lshlrev_b32_e32 v25, 31, v25
	v_alignbit_b32 v28, v26, v28, 9
	v_clz_i32_u32_e32 v30, v27
	s_delay_alu instid0(VALU_DEP_2) | instskip(SKIP_1) | instid1(VALU_DEP_3)
	v_or_b32_e32 v28, v28, v25
	v_or_b32_e32 v25, 0x33800000, v25
	v_min_u32_e32 v30, 32, v30
	s_delay_alu instid0(VALU_DEP_3) | instskip(NEXT) | instid1(VALU_DEP_2)
	v_xor_b32_e32 v28, 1.0, v28
	v_sub_nc_u32_e32 v31, 31, v30
	v_add_lshl_u32 v26, v30, v26, 23
	s_delay_alu instid0(VALU_DEP_3) | instskip(NEXT) | instid1(VALU_DEP_3)
	v_mul_f32_e32 v30, 0x3fc90fda, v28
	v_alignbit_b32 v24, v27, v24, v31
	s_delay_alu instid0(VALU_DEP_3) | instskip(NEXT) | instid1(VALU_DEP_3)
	v_sub_nc_u32_e32 v25, v25, v26
	v_fma_f32 v26, 0x3fc90fda, v28, -v30
	s_delay_alu instid0(VALU_DEP_3) | instskip(NEXT) | instid1(VALU_DEP_2)
	v_lshrrev_b32_e32 v24, 9, v24
	v_fmac_f32_e32 v26, 0x33a22168, v28
	s_delay_alu instid0(VALU_DEP_2) | instskip(NEXT) | instid1(VALU_DEP_1)
	v_or_b32_e32 v24, v25, v24
	v_fmac_f32_e32 v26, 0x3fc90fda, v24
	s_delay_alu instid0(VALU_DEP_1)
	v_add_f32_e32 v24, v30, v26
	v_add_nc_u32_e32 v26, v29, v18
                                        ; implicit-def: $vgpr18
	s_and_not1_saveexec_b32 s3, s30
	s_cbranch_execnz .LBB4_9
	s_branch .LBB4_10
.LBB4_8:                                ;   in Loop: Header=BB4_2 Depth=1
	s_and_not1_saveexec_b32 s3, s30
.LBB4_9:                                ;   in Loop: Header=BB4_2 Depth=1
	v_fma_f32 v24, 0xbfc90fda, v18, |v20|
	v_cvt_i32_f32_e32 v26, v18
	s_delay_alu instid0(VALU_DEP_2) | instskip(NEXT) | instid1(VALU_DEP_1)
	v_fmac_f32_e32 v24, 0xb3a22168, v18
	v_fmac_f32_e32 v24, 0xa7c234c4, v18
.LBB4_10:                               ;   in Loop: Header=BB4_2 Depth=1
	s_or_b32 exec_lo, exec_lo, s3
	v_add_co_u32 v27, vcc_lo, s14, v16
	v_add_co_ci_u32_e32 v28, vcc_lo, s15, v17, vcc_lo
                                        ; implicit-def: $vgpr29
	global_load_b32 v25, v[27:28], off
                                        ; implicit-def: $vgpr28
	s_waitcnt vmcnt(0)
	v_and_b32_e32 v27, 0x7fffffff, v25
	v_cmp_ngt_f32_e64 s30, 0x48000000, |v25|
	s_delay_alu instid0(VALU_DEP_2) | instskip(SKIP_1) | instid1(VALU_DEP_2)
	v_lshrrev_b32_e32 v18, 23, v27
	v_and_or_b32 v31, v27, s27, 0x800000
	v_add_nc_u32_e32 v33, 0xffffff88, v18
	s_delay_alu instid0(VALU_DEP_4) | instskip(NEXT) | instid1(SALU_CYCLE_1)
	s_and_saveexec_b32 s3, s30
	s_xor_b32 s31, exec_lo, s3
	s_cbranch_execz .LBB4_12
; %bb.11:                               ;   in Loop: Header=BB4_2 Depth=1
	v_mad_u64_u32 v[28:29], null, 0xfe5163ab, v31, 0
	v_cmp_lt_u32_e32 vcc_lo, 63, v33
	s_delay_alu instid0(VALU_DEP_2) | instskip(NEXT) | instid1(VALU_DEP_1)
	v_mov_b32_e32 v18, v29
	v_mad_u64_u32 v[29:30], null, 0x3c439041, v31, v[18:19]
	s_delay_alu instid0(VALU_DEP_1) | instskip(SKIP_1) | instid1(VALU_DEP_2)
	v_mov_b32_e32 v18, v30
	v_cndmask_b32_e64 v30, 0, 0xffffffc0, vcc_lo
	v_mad_u64_u32 v[34:35], null, 0xdb629599, v31, v[18:19]
	s_delay_alu instid0(VALU_DEP_2) | instskip(NEXT) | instid1(VALU_DEP_1)
	v_add_nc_u32_e32 v30, v30, v33
	v_cmp_lt_u32_e64 s3, 31, v30
	s_delay_alu instid0(VALU_DEP_3) | instskip(NEXT) | instid1(VALU_DEP_4)
	v_mov_b32_e32 v18, v35
	v_cndmask_b32_e32 v28, v34, v28, vcc_lo
	s_delay_alu instid0(VALU_DEP_3) | instskip(NEXT) | instid1(VALU_DEP_3)
	v_cndmask_b32_e64 v32, 0, 0xffffffe0, s3
	v_mad_u64_u32 v[35:36], null, 0xf534ddc0, v31, v[18:19]
	s_delay_alu instid0(VALU_DEP_2) | instskip(NEXT) | instid1(VALU_DEP_2)
	v_add_nc_u32_e32 v30, v32, v30
	v_mov_b32_e32 v18, v36
	s_delay_alu instid0(VALU_DEP_2) | instskip(NEXT) | instid1(VALU_DEP_4)
	v_cmp_lt_u32_e64 s4, 31, v30
	v_cndmask_b32_e32 v29, v35, v29, vcc_lo
	s_delay_alu instid0(VALU_DEP_3) | instskip(NEXT) | instid1(VALU_DEP_2)
	v_mad_u64_u32 v[36:37], null, 0xfc2757d1, v31, v[18:19]
	v_cndmask_b32_e64 v28, v29, v28, s3
	s_delay_alu instid0(VALU_DEP_2) | instskip(NEXT) | instid1(VALU_DEP_1)
	v_mov_b32_e32 v18, v37
	v_mad_u64_u32 v[37:38], null, 0x4e441529, v31, v[18:19]
	s_delay_alu instid0(VALU_DEP_1) | instskip(NEXT) | instid1(VALU_DEP_2)
	v_mov_b32_e32 v18, v38
	v_cndmask_b32_e32 v32, v37, v35, vcc_lo
	s_delay_alu instid0(VALU_DEP_2) | instskip(SKIP_1) | instid1(VALU_DEP_1)
	v_mad_u64_u32 v[38:39], null, 0xa2f9836e, v31, v[18:19]
	v_cndmask_b32_e64 v18, 0, 0xffffffe0, s4
	v_add_nc_u32_e32 v18, v18, v30
	s_delay_alu instid0(VALU_DEP_3) | instskip(SKIP_1) | instid1(VALU_DEP_3)
	v_dual_cndmask_b32 v38, v38, v36 :: v_dual_cndmask_b32 v37, v39, v37
	v_cndmask_b32_e32 v36, v36, v34, vcc_lo
	v_cmp_eq_u32_e64 s5, 0, v18
	s_delay_alu instid0(VALU_DEP_3) | instskip(NEXT) | instid1(VALU_DEP_4)
	v_cndmask_b32_e64 v30, v38, v32, s3
	v_cndmask_b32_e64 v35, v37, v38, s3
	s_delay_alu instid0(VALU_DEP_4) | instskip(SKIP_2) | instid1(VALU_DEP_4)
	v_cndmask_b32_e64 v32, v32, v36, s3
	v_sub_nc_u32_e32 v37, 32, v18
	v_cndmask_b32_e64 v36, v36, v29, s3
	v_cndmask_b32_e64 v35, v35, v30, s4
	s_delay_alu instid0(VALU_DEP_4) | instskip(NEXT) | instid1(VALU_DEP_3)
	v_cndmask_b32_e64 v30, v30, v32, s4
	v_cndmask_b32_e64 v32, v32, v36, s4
	;; [unrolled: 1-line block ×3, first 2 shown]
	s_delay_alu instid0(VALU_DEP_3) | instskip(NEXT) | instid1(VALU_DEP_3)
	v_alignbit_b32 v38, v35, v30, v37
	v_alignbit_b32 v39, v30, v32, v37
	s_delay_alu instid0(VALU_DEP_3) | instskip(NEXT) | instid1(VALU_DEP_3)
	v_alignbit_b32 v37, v32, v28, v37
	v_cndmask_b32_e64 v18, v38, v35, s5
	s_delay_alu instid0(VALU_DEP_3) | instskip(NEXT) | instid1(VALU_DEP_3)
	v_cndmask_b32_e64 v30, v39, v30, s5
	v_cndmask_b32_e64 v32, v37, v32, s5
	s_delay_alu instid0(VALU_DEP_3) | instskip(NEXT) | instid1(VALU_DEP_3)
	v_bfe_u32 v34, v18, 29, 1
	v_alignbit_b32 v29, v18, v30, 30
	s_delay_alu instid0(VALU_DEP_3) | instskip(SKIP_1) | instid1(VALU_DEP_4)
	v_alignbit_b32 v30, v30, v32, 30
	v_alignbit_b32 v28, v32, v28, 30
	v_sub_nc_u32_e32 v35, 0, v34
	s_delay_alu instid0(VALU_DEP_1) | instskip(SKIP_3) | instid1(VALU_DEP_4)
	v_xor_b32_e32 v36, v29, v35
	v_cmp_ne_u32_e32 vcc_lo, v29, v35
	v_xor_b32_e32 v30, v30, v35
	v_xor_b32_e32 v28, v28, v35
	v_clz_i32_u32_e32 v38, v36
	s_delay_alu instid0(VALU_DEP_1) | instskip(NEXT) | instid1(VALU_DEP_1)
	v_add_nc_u32_e32 v37, 1, v38
	v_cndmask_b32_e32 v29, 33, v37, vcc_lo
	s_delay_alu instid0(VALU_DEP_1) | instskip(NEXT) | instid1(VALU_DEP_1)
	v_sub_nc_u32_e32 v32, 32, v29
	v_alignbit_b32 v35, v36, v30, v32
	v_alignbit_b32 v28, v30, v28, v32
	v_lshrrev_b32_e32 v30, 29, v18
	v_lshrrev_b32_e32 v18, 30, v18
	s_delay_alu instid0(VALU_DEP_3) | instskip(NEXT) | instid1(VALU_DEP_3)
	v_alignbit_b32 v32, v35, v28, 9
	v_lshlrev_b32_e32 v30, 31, v30
	v_alignbit_b32 v35, v29, v35, 9
	s_delay_alu instid0(VALU_DEP_3) | instskip(NEXT) | instid1(VALU_DEP_2)
	v_clz_i32_u32_e32 v36, v32
	v_or_b32_e32 v35, v35, v30
	v_or_b32_e32 v30, 0x33800000, v30
	s_delay_alu instid0(VALU_DEP_3) | instskip(NEXT) | instid1(VALU_DEP_3)
	v_min_u32_e32 v36, 32, v36
	v_xor_b32_e32 v35, 1.0, v35
	s_delay_alu instid0(VALU_DEP_2) | instskip(SKIP_1) | instid1(VALU_DEP_3)
	v_sub_nc_u32_e32 v37, 31, v36
	v_add_lshl_u32 v29, v36, v29, 23
	v_mul_f32_e32 v36, 0x3fc90fda, v35
	s_delay_alu instid0(VALU_DEP_3) | instskip(NEXT) | instid1(VALU_DEP_3)
	v_alignbit_b32 v28, v32, v28, v37
	v_sub_nc_u32_e32 v29, v30, v29
	s_delay_alu instid0(VALU_DEP_3) | instskip(NEXT) | instid1(VALU_DEP_3)
	v_fma_f32 v30, 0x3fc90fda, v35, -v36
	v_lshrrev_b32_e32 v28, 9, v28
	s_delay_alu instid0(VALU_DEP_2) | instskip(NEXT) | instid1(VALU_DEP_2)
	v_fmac_f32_e32 v30, 0x33a22168, v35
	v_or_b32_e32 v28, v29, v28
	s_delay_alu instid0(VALU_DEP_1) | instskip(NEXT) | instid1(VALU_DEP_1)
	v_dual_fmac_f32 v30, 0x3fc90fda, v28 :: v_dual_add_nc_u32 v29, v34, v18
	v_add_f32_e32 v28, v36, v30
.LBB4_12:                               ;   in Loop: Header=BB4_2 Depth=1
	s_or_saveexec_b32 s3, s31
	v_mul_f32_e64 v18, 0x3f22f983, |v25|
	s_delay_alu instid0(VALU_DEP_1)
	v_rndne_f32_e32 v18, v18
	s_xor_b32 exec_lo, exec_lo, s3
; %bb.13:                               ;   in Loop: Header=BB4_2 Depth=1
	s_delay_alu instid0(VALU_DEP_1) | instskip(SKIP_1) | instid1(VALU_DEP_2)
	v_fma_f32 v28, 0xbfc90fda, v18, |v25|
	v_cvt_i32_f32_e32 v29, v18
	v_fmac_f32_e32 v28, 0xb3a22168, v18
	s_delay_alu instid0(VALU_DEP_1)
	v_fmac_f32_e32 v28, 0xa7c234c4, v18
; %bb.14:                               ;   in Loop: Header=BB4_2 Depth=1
	s_or_b32 exec_lo, exec_lo, s3
                                        ; implicit-def: $vgpr32
                                        ; implicit-def: $vgpr30
	s_and_saveexec_b32 s3, s30
	s_delay_alu instid0(SALU_CYCLE_1)
	s_xor_b32 s30, exec_lo, s3
	s_cbranch_execz .LBB4_16
; %bb.15:                               ;   in Loop: Header=BB4_2 Depth=1
	v_mad_u64_u32 v[34:35], null, 0xfe5163ab, v31, 0
	v_cmp_lt_u32_e32 vcc_lo, 63, v33
	v_cndmask_b32_e64 v30, 0, 0xffffffc0, vcc_lo
	s_delay_alu instid0(VALU_DEP_3) | instskip(NEXT) | instid1(VALU_DEP_2)
	v_mov_b32_e32 v18, v35
	v_add_nc_u32_e32 v30, v30, v33
	s_delay_alu instid0(VALU_DEP_2) | instskip(NEXT) | instid1(VALU_DEP_2)
	v_mad_u64_u32 v[35:36], null, 0x3c439041, v31, v[18:19]
	v_cmp_lt_u32_e64 s3, 31, v30
	s_delay_alu instid0(VALU_DEP_2) | instskip(NEXT) | instid1(VALU_DEP_1)
	v_mov_b32_e32 v18, v36
	v_mad_u64_u32 v[36:37], null, 0xdb629599, v31, v[18:19]
	s_delay_alu instid0(VALU_DEP_1) | instskip(NEXT) | instid1(VALU_DEP_1)
	v_mov_b32_e32 v18, v37
	v_mad_u64_u32 v[37:38], null, 0xf534ddc0, v31, v[18:19]
	s_delay_alu instid0(VALU_DEP_1) | instskip(NEXT) | instid1(VALU_DEP_1)
	v_mov_b32_e32 v18, v38
	v_mad_u64_u32 v[38:39], null, 0xfc2757d1, v31, v[18:19]
	s_delay_alu instid0(VALU_DEP_1) | instskip(SKIP_1) | instid1(VALU_DEP_2)
	v_mov_b32_e32 v18, v39
	v_cndmask_b32_e64 v39, 0, 0xffffffe0, s3
	v_mad_u64_u32 v[32:33], null, 0x4e441529, v31, v[18:19]
	s_delay_alu instid0(VALU_DEP_2) | instskip(NEXT) | instid1(VALU_DEP_1)
	v_add_nc_u32_e32 v30, v39, v30
	v_cmp_lt_u32_e64 s4, 31, v30
	s_delay_alu instid0(VALU_DEP_3) | instskip(NEXT) | instid1(VALU_DEP_1)
	v_mov_b32_e32 v18, v33
	v_mad_u64_u32 v[39:40], null, 0xa2f9836e, v31, v[18:19]
	s_delay_alu instid0(VALU_DEP_3) | instskip(NEXT) | instid1(VALU_DEP_1)
	v_cndmask_b32_e64 v18, 0, 0xffffffe0, s4
	v_dual_cndmask_b32 v31, v32, v37 :: v_dual_add_nc_u32 v18, v18, v30
	s_delay_alu instid0(VALU_DEP_3) | instskip(SKIP_2) | instid1(VALU_DEP_4)
	v_dual_cndmask_b32 v33, v39, v38 :: v_dual_cndmask_b32 v32, v40, v32
	v_cndmask_b32_e32 v38, v38, v36, vcc_lo
	v_cndmask_b32_e32 v30, v37, v35, vcc_lo
	v_cmp_eq_u32_e64 s5, 0, v18
	s_delay_alu instid0(VALU_DEP_4) | instskip(SKIP_4) | instid1(VALU_DEP_4)
	v_cndmask_b32_e64 v35, v33, v31, s3
	v_cndmask_b32_e64 v32, v32, v33, s3
	;; [unrolled: 1-line block ×3, first 2 shown]
	v_sub_nc_u32_e32 v33, 32, v18
	v_cndmask_b32_e64 v37, v38, v30, s3
	v_cndmask_b32_e64 v32, v32, v35, s4
	s_delay_alu instid0(VALU_DEP_4) | instskip(NEXT) | instid1(VALU_DEP_3)
	v_cndmask_b32_e64 v35, v35, v31, s4
	v_cndmask_b32_e64 v31, v31, v37, s4
	s_delay_alu instid0(VALU_DEP_2) | instskip(NEXT) | instid1(VALU_DEP_2)
	v_alignbit_b32 v38, v32, v35, v33
	v_alignbit_b32 v39, v35, v31, v33
	s_delay_alu instid0(VALU_DEP_2) | instskip(SKIP_1) | instid1(VALU_DEP_3)
	v_cndmask_b32_e64 v18, v38, v32, s5
	v_cndmask_b32_e32 v32, v36, v34, vcc_lo
	v_cndmask_b32_e64 v34, v39, v35, s5
	s_delay_alu instid0(VALU_DEP_3) | instskip(NEXT) | instid1(VALU_DEP_3)
	v_bfe_u32 v35, v18, 29, 1
	v_cndmask_b32_e64 v30, v30, v32, s3
	s_delay_alu instid0(VALU_DEP_3) | instskip(NEXT) | instid1(VALU_DEP_3)
	v_alignbit_b32 v32, v18, v34, 30
	v_sub_nc_u32_e32 v36, 0, v35
	s_delay_alu instid0(VALU_DEP_3) | instskip(NEXT) | instid1(VALU_DEP_2)
	v_cndmask_b32_e64 v30, v37, v30, s4
	v_xor_b32_e32 v37, v32, v36
	s_delay_alu instid0(VALU_DEP_2) | instskip(SKIP_1) | instid1(VALU_DEP_3)
	v_alignbit_b32 v33, v31, v30, v33
	v_cmp_ne_u32_e32 vcc_lo, v32, v36
	v_clz_i32_u32_e32 v38, v37
	s_delay_alu instid0(VALU_DEP_3) | instskip(NEXT) | instid1(VALU_DEP_2)
	v_cndmask_b32_e64 v31, v33, v31, s5
	v_add_nc_u32_e32 v33, 1, v38
	s_delay_alu instid0(VALU_DEP_2) | instskip(SKIP_1) | instid1(VALU_DEP_3)
	v_alignbit_b32 v34, v34, v31, 30
	v_alignbit_b32 v30, v31, v30, 30
	v_cndmask_b32_e32 v32, 33, v33, vcc_lo
	s_delay_alu instid0(VALU_DEP_3) | instskip(NEXT) | instid1(VALU_DEP_3)
	v_xor_b32_e32 v31, v34, v36
	v_xor_b32_e32 v30, v30, v36
	s_delay_alu instid0(VALU_DEP_3) | instskip(NEXT) | instid1(VALU_DEP_1)
	v_sub_nc_u32_e32 v33, 32, v32
	v_alignbit_b32 v34, v37, v31, v33
	s_delay_alu instid0(VALU_DEP_3) | instskip(SKIP_2) | instid1(VALU_DEP_3)
	v_alignbit_b32 v30, v31, v30, v33
	v_lshrrev_b32_e32 v31, 29, v18
	v_lshrrev_b32_e32 v18, 30, v18
	v_alignbit_b32 v33, v34, v30, 9
	s_delay_alu instid0(VALU_DEP_3) | instskip(SKIP_1) | instid1(VALU_DEP_3)
	v_lshlrev_b32_e32 v31, 31, v31
	v_alignbit_b32 v34, v32, v34, 9
	v_clz_i32_u32_e32 v36, v33
	s_delay_alu instid0(VALU_DEP_2) | instskip(SKIP_1) | instid1(VALU_DEP_3)
	v_or_b32_e32 v34, v34, v31
	v_or_b32_e32 v31, 0x33800000, v31
	v_min_u32_e32 v36, 32, v36
	s_delay_alu instid0(VALU_DEP_3) | instskip(NEXT) | instid1(VALU_DEP_2)
	v_xor_b32_e32 v34, 1.0, v34
	v_sub_nc_u32_e32 v37, 31, v36
	v_add_lshl_u32 v32, v36, v32, 23
	s_delay_alu instid0(VALU_DEP_3) | instskip(NEXT) | instid1(VALU_DEP_3)
	v_mul_f32_e32 v36, 0x3fc90fda, v34
	v_alignbit_b32 v30, v33, v30, v37
	s_delay_alu instid0(VALU_DEP_3) | instskip(NEXT) | instid1(VALU_DEP_3)
	v_sub_nc_u32_e32 v31, v31, v32
	v_fma_f32 v32, 0x3fc90fda, v34, -v36
	s_delay_alu instid0(VALU_DEP_3) | instskip(NEXT) | instid1(VALU_DEP_2)
	v_lshrrev_b32_e32 v30, 9, v30
	v_fmac_f32_e32 v32, 0x33a22168, v34
	s_delay_alu instid0(VALU_DEP_2) | instskip(NEXT) | instid1(VALU_DEP_1)
	v_or_b32_e32 v30, v31, v30
	v_fmac_f32_e32 v32, 0x3fc90fda, v30
	s_delay_alu instid0(VALU_DEP_1)
	v_add_f32_e32 v30, v36, v32
	v_add_nc_u32_e32 v32, v35, v18
                                        ; implicit-def: $vgpr18
	s_and_not1_saveexec_b32 s3, s30
	s_cbranch_execnz .LBB4_17
	s_branch .LBB4_18
.LBB4_16:                               ;   in Loop: Header=BB4_2 Depth=1
	s_and_not1_saveexec_b32 s3, s30
.LBB4_17:                               ;   in Loop: Header=BB4_2 Depth=1
	v_fma_f32 v30, 0xbfc90fda, v18, |v25|
	v_cvt_i32_f32_e32 v32, v18
	s_delay_alu instid0(VALU_DEP_2) | instskip(NEXT) | instid1(VALU_DEP_1)
	v_fmac_f32_e32 v30, 0xb3a22168, v18
	v_fmac_f32_e32 v30, 0xa7c234c4, v18
.LBB4_18:                               ;   in Loop: Header=BB4_2 Depth=1
	s_or_b32 exec_lo, exec_lo, s3
	v_add_co_u32 v33, vcc_lo, s16, v16
	v_add_co_ci_u32_e32 v34, vcc_lo, s17, v17, vcc_lo
                                        ; implicit-def: $vgpr35
	global_load_b32 v31, v[33:34], off
                                        ; implicit-def: $vgpr34
	s_waitcnt vmcnt(0)
	v_and_b32_e32 v33, 0x7fffffff, v31
	v_cmp_ngt_f32_e64 s30, 0x48000000, |v31|
	s_delay_alu instid0(VALU_DEP_2) | instskip(SKIP_1) | instid1(VALU_DEP_2)
	v_lshrrev_b32_e32 v18, 23, v33
	v_and_or_b32 v36, v33, s27, 0x800000
	v_add_nc_u32_e32 v38, 0xffffff88, v18
	s_delay_alu instid0(VALU_DEP_4) | instskip(NEXT) | instid1(SALU_CYCLE_1)
	s_and_saveexec_b32 s3, s30
	s_xor_b32 s31, exec_lo, s3
	s_cbranch_execz .LBB4_20
; %bb.19:                               ;   in Loop: Header=BB4_2 Depth=1
	v_mad_u64_u32 v[34:35], null, 0xfe5163ab, v36, 0
	v_cmp_lt_u32_e32 vcc_lo, 63, v38
	s_delay_alu instid0(VALU_DEP_2) | instskip(SKIP_1) | instid1(VALU_DEP_1)
	v_mov_b32_e32 v18, v35
	v_cndmask_b32_e64 v35, 0, 0xffffffc0, vcc_lo
	v_add_nc_u32_e32 v35, v35, v38
	s_delay_alu instid0(VALU_DEP_1) | instskip(NEXT) | instid1(VALU_DEP_1)
	v_cmp_lt_u32_e64 s3, 31, v35
	v_cndmask_b32_e64 v37, 0, 0xffffffe0, s3
	s_delay_alu instid0(VALU_DEP_1) | instskip(SKIP_1) | instid1(VALU_DEP_2)
	v_add_nc_u32_e32 v35, v37, v35
	v_mad_u64_u32 v[39:40], null, 0x3c439041, v36, v[18:19]
	v_cmp_lt_u32_e64 s4, 31, v35
	s_delay_alu instid0(VALU_DEP_2) | instskip(NEXT) | instid1(VALU_DEP_1)
	v_mov_b32_e32 v18, v40
	v_mad_u64_u32 v[40:41], null, 0xdb629599, v36, v[18:19]
	s_delay_alu instid0(VALU_DEP_1) | instskip(NEXT) | instid1(VALU_DEP_2)
	v_mov_b32_e32 v18, v41
	v_cndmask_b32_e32 v34, v40, v34, vcc_lo
	s_delay_alu instid0(VALU_DEP_2) | instskip(NEXT) | instid1(VALU_DEP_1)
	v_mad_u64_u32 v[41:42], null, 0xf534ddc0, v36, v[18:19]
	v_mov_b32_e32 v18, v42
	s_delay_alu instid0(VALU_DEP_1) | instskip(NEXT) | instid1(VALU_DEP_1)
	v_mad_u64_u32 v[42:43], null, 0xfc2757d1, v36, v[18:19]
	v_mov_b32_e32 v18, v43
	s_delay_alu instid0(VALU_DEP_1) | instskip(NEXT) | instid1(VALU_DEP_1)
	v_mad_u64_u32 v[43:44], null, 0x4e441529, v36, v[18:19]
	v_dual_mov_b32 v18, v44 :: v_dual_cndmask_b32 v37, v43, v41
	s_delay_alu instid0(VALU_DEP_1) | instskip(SKIP_1) | instid1(VALU_DEP_1)
	v_mad_u64_u32 v[44:45], null, 0xa2f9836e, v36, v[18:19]
	v_cndmask_b32_e64 v18, 0, 0xffffffe0, s4
	v_add_nc_u32_e32 v18, v18, v35
	s_delay_alu instid0(VALU_DEP_3) | instskip(SKIP_1) | instid1(VALU_DEP_3)
	v_dual_cndmask_b32 v44, v44, v42 :: v_dual_cndmask_b32 v43, v45, v43
	v_dual_cndmask_b32 v42, v42, v40 :: v_dual_cndmask_b32 v35, v41, v39
	v_cmp_eq_u32_e64 s5, 0, v18
	s_delay_alu instid0(VALU_DEP_3) | instskip(NEXT) | instid1(VALU_DEP_4)
	v_cndmask_b32_e64 v39, v44, v37, s3
	v_cndmask_b32_e64 v41, v43, v44, s3
	s_delay_alu instid0(VALU_DEP_4)
	v_cndmask_b32_e64 v37, v37, v42, s3
	v_sub_nc_u32_e32 v43, 32, v18
	v_cndmask_b32_e64 v42, v42, v35, s3
	v_cndmask_b32_e64 v34, v35, v34, s3
	;; [unrolled: 1-line block ×4, first 2 shown]
	s_delay_alu instid0(VALU_DEP_4) | instskip(NEXT) | instid1(VALU_DEP_4)
	v_cndmask_b32_e64 v37, v37, v42, s4
	v_cndmask_b32_e64 v34, v42, v34, s4
	s_delay_alu instid0(VALU_DEP_3) | instskip(NEXT) | instid1(VALU_DEP_3)
	v_alignbit_b32 v44, v41, v39, v43
	v_alignbit_b32 v45, v39, v37, v43
	s_delay_alu instid0(VALU_DEP_3) | instskip(NEXT) | instid1(VALU_DEP_3)
	v_alignbit_b32 v43, v37, v34, v43
	v_cndmask_b32_e64 v18, v44, v41, s5
	s_delay_alu instid0(VALU_DEP_3) | instskip(NEXT) | instid1(VALU_DEP_3)
	v_cndmask_b32_e64 v39, v45, v39, s5
	v_cndmask_b32_e64 v37, v43, v37, s5
	s_delay_alu instid0(VALU_DEP_3) | instskip(NEXT) | instid1(VALU_DEP_3)
	v_bfe_u32 v40, v18, 29, 1
	v_alignbit_b32 v35, v18, v39, 30
	s_delay_alu instid0(VALU_DEP_3) | instskip(SKIP_1) | instid1(VALU_DEP_4)
	v_alignbit_b32 v39, v39, v37, 30
	v_alignbit_b32 v34, v37, v34, 30
	v_sub_nc_u32_e32 v41, 0, v40
	s_delay_alu instid0(VALU_DEP_1) | instskip(SKIP_3) | instid1(VALU_DEP_4)
	v_xor_b32_e32 v42, v35, v41
	v_cmp_ne_u32_e32 vcc_lo, v35, v41
	v_xor_b32_e32 v37, v39, v41
	v_xor_b32_e32 v34, v34, v41
	v_clz_i32_u32_e32 v44, v42
	s_delay_alu instid0(VALU_DEP_1) | instskip(NEXT) | instid1(VALU_DEP_1)
	v_add_nc_u32_e32 v43, 1, v44
	v_cndmask_b32_e32 v35, 33, v43, vcc_lo
	s_delay_alu instid0(VALU_DEP_1) | instskip(NEXT) | instid1(VALU_DEP_1)
	v_sub_nc_u32_e32 v39, 32, v35
	v_alignbit_b32 v41, v42, v37, v39
	v_alignbit_b32 v34, v37, v34, v39
	v_lshrrev_b32_e32 v37, 29, v18
	v_lshrrev_b32_e32 v18, 30, v18
	s_delay_alu instid0(VALU_DEP_3) | instskip(NEXT) | instid1(VALU_DEP_3)
	v_alignbit_b32 v39, v41, v34, 9
	v_lshlrev_b32_e32 v37, 31, v37
	v_alignbit_b32 v41, v35, v41, 9
	s_delay_alu instid0(VALU_DEP_3) | instskip(NEXT) | instid1(VALU_DEP_2)
	v_clz_i32_u32_e32 v42, v39
	v_or_b32_e32 v41, v41, v37
	v_or_b32_e32 v37, 0x33800000, v37
	s_delay_alu instid0(VALU_DEP_3) | instskip(NEXT) | instid1(VALU_DEP_3)
	v_min_u32_e32 v42, 32, v42
	v_xor_b32_e32 v41, 1.0, v41
	s_delay_alu instid0(VALU_DEP_2) | instskip(SKIP_1) | instid1(VALU_DEP_2)
	v_sub_nc_u32_e32 v43, 31, v42
	v_add_lshl_u32 v35, v42, v35, 23
	v_alignbit_b32 v34, v39, v34, v43
	s_delay_alu instid0(VALU_DEP_2) | instskip(NEXT) | instid1(VALU_DEP_2)
	v_sub_nc_u32_e32 v35, v37, v35
	v_lshrrev_b32_e32 v34, 9, v34
	s_delay_alu instid0(VALU_DEP_1) | instskip(SKIP_1) | instid1(VALU_DEP_1)
	v_or_b32_e32 v34, v35, v34
	v_dual_mul_f32 v42, 0x3fc90fda, v41 :: v_dual_add_nc_u32 v35, v40, v18
	v_fma_f32 v37, 0x3fc90fda, v41, -v42
	s_delay_alu instid0(VALU_DEP_1) | instskip(NEXT) | instid1(VALU_DEP_1)
	v_fmac_f32_e32 v37, 0x33a22168, v41
	v_fmac_f32_e32 v37, 0x3fc90fda, v34
	s_delay_alu instid0(VALU_DEP_1)
	v_add_f32_e32 v34, v42, v37
.LBB4_20:                               ;   in Loop: Header=BB4_2 Depth=1
	s_or_saveexec_b32 s3, s31
	v_mul_f32_e64 v18, 0x3f22f983, |v31|
	s_delay_alu instid0(VALU_DEP_1)
	v_rndne_f32_e32 v39, v18
	s_xor_b32 exec_lo, exec_lo, s3
; %bb.21:                               ;   in Loop: Header=BB4_2 Depth=1
	s_delay_alu instid0(VALU_DEP_1) | instskip(SKIP_1) | instid1(VALU_DEP_2)
	v_fma_f32 v34, 0xbfc90fda, v39, |v31|
	v_cvt_i32_f32_e32 v35, v39
	v_fmac_f32_e32 v34, 0xb3a22168, v39
	s_delay_alu instid0(VALU_DEP_1)
	v_fmac_f32_e32 v34, 0xa7c234c4, v39
; %bb.22:                               ;   in Loop: Header=BB4_2 Depth=1
	s_or_b32 exec_lo, exec_lo, s3
                                        ; implicit-def: $vgpr37
                                        ; implicit-def: $vgpr18
	s_and_saveexec_b32 s3, s30
	s_delay_alu instid0(SALU_CYCLE_1)
	s_xor_b32 s30, exec_lo, s3
	s_cbranch_execz .LBB4_24
; %bb.23:                               ;   in Loop: Header=BB4_2 Depth=1
	v_mad_u64_u32 v[39:40], null, 0xfe5163ab, v36, 0
	v_cmp_lt_u32_e32 vcc_lo, 63, v38
	v_cndmask_b32_e64 v37, 0, 0xffffffc0, vcc_lo
	s_delay_alu instid0(VALU_DEP_3) | instskip(NEXT) | instid1(VALU_DEP_1)
	v_mov_b32_e32 v18, v40
	v_mad_u64_u32 v[40:41], null, 0x3c439041, v36, v[18:19]
	s_delay_alu instid0(VALU_DEP_1) | instskip(NEXT) | instid1(VALU_DEP_1)
	v_mov_b32_e32 v18, v41
	v_mad_u64_u32 v[41:42], null, 0xdb629599, v36, v[18:19]
	s_delay_alu instid0(VALU_DEP_1) | instskip(NEXT) | instid1(VALU_DEP_1)
	;; [unrolled: 3-line block ×3, first 2 shown]
	v_mov_b32_e32 v18, v43
	v_mad_u64_u32 v[43:44], null, 0xfc2757d1, v36, v[18:19]
	s_delay_alu instid0(VALU_DEP_1) | instskip(SKIP_1) | instid1(VALU_DEP_2)
	v_mov_b32_e32 v18, v44
	v_add_nc_u32_e32 v44, v37, v38
	v_mad_u64_u32 v[37:38], null, 0x4e441529, v36, v[18:19]
	s_delay_alu instid0(VALU_DEP_2) | instskip(NEXT) | instid1(VALU_DEP_1)
	v_cmp_lt_u32_e64 s3, 31, v44
	v_cndmask_b32_e64 v45, 0, 0xffffffe0, s3
	s_delay_alu instid0(VALU_DEP_3) | instskip(NEXT) | instid1(VALU_DEP_2)
	v_mov_b32_e32 v18, v38
	v_add_nc_u32_e32 v38, v45, v44
	s_delay_alu instid0(VALU_DEP_2) | instskip(SKIP_1) | instid1(VALU_DEP_3)
	v_mad_u64_u32 v[44:45], null, 0xa2f9836e, v36, v[18:19]
	v_cndmask_b32_e32 v36, v37, v42, vcc_lo
	v_cmp_lt_u32_e64 s4, 31, v38
	s_delay_alu instid0(VALU_DEP_3) | instskip(NEXT) | instid1(VALU_DEP_2)
	v_cndmask_b32_e32 v44, v44, v43, vcc_lo
	v_cndmask_b32_e64 v18, 0, 0xffffffe0, s4
	v_cndmask_b32_e32 v37, v45, v37, vcc_lo
	s_delay_alu instid0(VALU_DEP_2) | instskip(SKIP_2) | instid1(VALU_DEP_4)
	v_dual_cndmask_b32 v43, v43, v41 :: v_dual_add_nc_u32 v18, v18, v38
	v_cndmask_b32_e32 v38, v42, v40, vcc_lo
	v_cndmask_b32_e64 v40, v44, v36, s3
	v_cndmask_b32_e64 v37, v37, v44, s3
	s_delay_alu instid0(VALU_DEP_4)
	v_cndmask_b32_e64 v36, v36, v43, s3
	v_sub_nc_u32_e32 v42, 32, v18
	v_cndmask_b32_e64 v43, v43, v38, s3
	v_cmp_eq_u32_e64 s5, 0, v18
	v_cndmask_b32_e64 v37, v37, v40, s4
	v_cndmask_b32_e64 v40, v40, v36, s4
	s_delay_alu instid0(VALU_DEP_4) | instskip(NEXT) | instid1(VALU_DEP_2)
	v_cndmask_b32_e64 v36, v36, v43, s4
	v_alignbit_b32 v44, v37, v40, v42
	s_delay_alu instid0(VALU_DEP_2) | instskip(NEXT) | instid1(VALU_DEP_2)
	v_alignbit_b32 v45, v40, v36, v42
	v_cndmask_b32_e64 v18, v44, v37, s5
	v_cndmask_b32_e32 v37, v41, v39, vcc_lo
	s_delay_alu instid0(VALU_DEP_3) | instskip(NEXT) | instid1(VALU_DEP_3)
	v_cndmask_b32_e64 v39, v45, v40, s5
	v_bfe_u32 v40, v18, 29, 1
	s_delay_alu instid0(VALU_DEP_3) | instskip(NEXT) | instid1(VALU_DEP_3)
	v_cndmask_b32_e64 v37, v38, v37, s3
	v_alignbit_b32 v38, v18, v39, 30
	s_delay_alu instid0(VALU_DEP_3) | instskip(NEXT) | instid1(VALU_DEP_3)
	v_sub_nc_u32_e32 v41, 0, v40
	v_cndmask_b32_e64 v37, v43, v37, s4
	s_delay_alu instid0(VALU_DEP_2) | instskip(NEXT) | instid1(VALU_DEP_2)
	v_xor_b32_e32 v43, v38, v41
	v_alignbit_b32 v42, v36, v37, v42
	v_cmp_ne_u32_e32 vcc_lo, v38, v41
	s_delay_alu instid0(VALU_DEP_3) | instskip(NEXT) | instid1(VALU_DEP_3)
	v_clz_i32_u32_e32 v44, v43
	v_cndmask_b32_e64 v36, v42, v36, s5
	s_delay_alu instid0(VALU_DEP_2) | instskip(NEXT) | instid1(VALU_DEP_2)
	v_add_nc_u32_e32 v42, 1, v44
	v_alignbit_b32 v39, v39, v36, 30
	v_alignbit_b32 v36, v36, v37, 30
	s_delay_alu instid0(VALU_DEP_3) | instskip(NEXT) | instid1(VALU_DEP_3)
	v_cndmask_b32_e32 v38, 33, v42, vcc_lo
	v_xor_b32_e32 v37, v39, v41
	s_delay_alu instid0(VALU_DEP_3) | instskip(NEXT) | instid1(VALU_DEP_3)
	v_xor_b32_e32 v36, v36, v41
	v_sub_nc_u32_e32 v39, 32, v38
	s_delay_alu instid0(VALU_DEP_1) | instskip(NEXT) | instid1(VALU_DEP_3)
	v_alignbit_b32 v41, v43, v37, v39
	v_alignbit_b32 v36, v37, v36, v39
	v_lshrrev_b32_e32 v37, 29, v18
	s_delay_alu instid0(VALU_DEP_2) | instskip(NEXT) | instid1(VALU_DEP_2)
	v_alignbit_b32 v39, v41, v36, 9
	v_lshlrev_b32_e32 v37, 31, v37
	v_alignbit_b32 v41, v38, v41, 9
	s_delay_alu instid0(VALU_DEP_3) | instskip(NEXT) | instid1(VALU_DEP_2)
	v_clz_i32_u32_e32 v42, v39
	v_or_b32_e32 v41, v41, v37
	v_or_b32_e32 v37, 0x33800000, v37
	s_delay_alu instid0(VALU_DEP_3) | instskip(NEXT) | instid1(VALU_DEP_3)
	v_min_u32_e32 v42, 32, v42
	v_xor_b32_e32 v41, 1.0, v41
	s_delay_alu instid0(VALU_DEP_2) | instskip(SKIP_1) | instid1(VALU_DEP_3)
	v_sub_nc_u32_e32 v43, 31, v42
	v_add_lshl_u32 v38, v42, v38, 23
	v_mul_f32_e32 v42, 0x3fc90fda, v41
	s_delay_alu instid0(VALU_DEP_3) | instskip(NEXT) | instid1(VALU_DEP_3)
	v_alignbit_b32 v36, v39, v36, v43
	v_sub_nc_u32_e32 v37, v37, v38
	s_delay_alu instid0(VALU_DEP_3) | instskip(NEXT) | instid1(VALU_DEP_3)
	v_fma_f32 v38, 0x3fc90fda, v41, -v42
                                        ; implicit-def: $vgpr39
	v_lshrrev_b32_e32 v36, 9, v36
	s_delay_alu instid0(VALU_DEP_2) | instskip(NEXT) | instid1(VALU_DEP_2)
	v_fmac_f32_e32 v38, 0x33a22168, v41
	v_or_b32_e32 v36, v37, v36
	s_delay_alu instid0(VALU_DEP_1) | instskip(SKIP_1) | instid1(VALU_DEP_1)
	v_fmac_f32_e32 v38, 0x3fc90fda, v36
	v_lshrrev_b32_e32 v36, 30, v18
	v_dual_add_f32 v18, v42, v38 :: v_dual_add_nc_u32 v37, v40, v36
	s_and_not1_saveexec_b32 s3, s30
	s_cbranch_execz .LBB4_1
	s_branch .LBB4_25
.LBB4_24:                               ;   in Loop: Header=BB4_2 Depth=1
	s_and_not1_saveexec_b32 s3, s30
	s_cbranch_execz .LBB4_1
.LBB4_25:                               ;   in Loop: Header=BB4_2 Depth=1
	v_fma_f32 v18, 0xbfc90fda, v39, |v31|
	v_cvt_i32_f32_e32 v37, v39
	s_delay_alu instid0(VALU_DEP_2) | instskip(NEXT) | instid1(VALU_DEP_1)
	v_fmac_f32_e32 v18, 0xb3a22168, v39
	v_fmac_f32_e32 v18, 0xa7c234c4, v39
	s_branch .LBB4_1
.LBB4_26:
	s_clause 0x1
	s_load_b64 s[4:5], s[0:1], 0x0
	s_load_b128 s[12:15], s[0:1], 0x48
	scratch_load_b128 v[16:19], off, off
	v_mov_b32_e32 v20, 0
	s_mov_b32 s17, 0
	s_delay_alu instid0(SALU_CYCLE_1)
	s_mov_b32 s16, s17
	s_waitcnt lgkmcnt(0)
	s_max_i32 s7, s5, 1
	s_max_i32 s20, s4, 1
	s_add_u32 s8, s8, 8
	s_addc_u32 s9, s9, 0
	s_waitcnt vmcnt(0)
	scratch_store_b128 off, v[16:19], off offset:768 ; 16-byte Folded Spill
	scratch_load_b128 v[16:19], off, off offset:16
	s_waitcnt vmcnt(0)
	scratch_store_b128 off, v[16:19], off offset:784 ; 16-byte Folded Spill
	scratch_load_b128 v[16:19], off, off offset:32
	;; [unrolled: 3-line block ×47, first 2 shown]
	s_waitcnt vmcnt(0)
	scratch_store_b128 off, v[16:19], off offset:1520 ; 16-byte Folded Spill
.LBB4_27:                               ; =>This Loop Header: Depth=1
                                        ;     Child Loop BB4_28 Depth 2
	s_lshl_b64 s[0:1], s[16:17], 4
	s_clause 0x1
	scratch_load_b128 v[87:90], off, off offset:768
	scratch_load_b128 v[16:19], off, off offset:1312
	s_add_u32 s0, s10, s0
	s_addc_u32 s1, s11, s1
	s_mov_b32 s21, s7
	global_load_b128 v[32:35], v20, s[0:1]
	s_mov_b64 s[18:19], s[8:9]
	scratch_load_b128 v[37:40], off, off offset:1392 ; 16-byte Folded Reload
	s_waitcnt vmcnt(1)
	v_fma_f32 v20, v32, v87, v90
	scratch_load_b128 v[90:93], off, off offset:784 ; 16-byte Folded Reload
	v_fma_f32 v75, v32, v16, v19
	v_ashrrev_i32_e32 v36, 31, v35
	s_waitcnt vmcnt(1)
	v_fma_f32 v80, v32, v37, v40
	v_fmac_f32_e32 v20, v33, v88
	scratch_load_b128 v[40:43], off, off offset:1408 ; 16-byte Folded Reload
	v_dual_fmac_f32 v75, v33, v17 :: v_dual_mov_b32 v16, v20
	s_delay_alu instid0(VALU_DEP_1)
	v_fmac_f32_e32 v16, v34, v89
	s_waitcnt vmcnt(1)
	v_fma_f32 v21, v32, v90, v93
	scratch_load_b128 v[93:96], off, off offset:800 ; 16-byte Folded Reload
	v_fmac_f32_e32 v21, v33, v91
	s_waitcnt vmcnt(1)
	v_fma_f32 v81, v32, v40, v43
	scratch_load_b128 v[43:46], off, off offset:1424 ; 16-byte Folded Reload
	v_mov_b32_e32 v17, v21
	scratch_load_b128 v[19:22], off, off offset:1328 ; 16-byte Folded Reload
	s_waitcnt vmcnt(2)
	v_fma_f32 v23, v32, v93, v96
	scratch_load_b128 v[96:99], off, off offset:816 ; 16-byte Folded Reload
	v_fmac_f32_e32 v23, v33, v94
	s_waitcnt vmcnt(2)
	v_fma_f32 v82, v32, v43, v46
	scratch_load_b128 v[46:49], off, off offset:1440 ; 16-byte Folded Reload
	s_waitcnt vmcnt(2)
	v_fma_f32 v76, v32, v19, v22
	s_delay_alu instid0(VALU_DEP_1)
	v_fmac_f32_e32 v76, v33, v20
	v_dual_mov_b32 v20, 0 :: v_dual_mov_b32 v19, v23
	scratch_load_b128 v[22:25], off, off offset:1344 ; 16-byte Folded Reload
	v_fmac_f32_e32 v76, v34, v21
	v_fmac_f32_e32 v17, v34, v92
	;; [unrolled: 1-line block ×3, first 2 shown]
	s_waitcnt vmcnt(2)
	v_fma_f32 v191, v32, v96, v99
	scratch_load_b128 v[99:102], off, off offset:832 ; 16-byte Folded Reload
	s_waitcnt vmcnt(2)
	v_fma_f32 v83, v32, v46, v49
	scratch_load_b128 v[49:52], off, off offset:1456 ; 16-byte Folded Reload
	;; [unrolled: 3-line block ×4, first 2 shown]
	v_fmac_f32_e32 v190, v33, v100
	s_waitcnt vmcnt(2)
	v_fma_f32 v84, v32, v49, v52
	scratch_load_b128 v[52:55], off, off offset:1472 ; 16-byte Folded Reload
	v_fmac_f32_e32 v190, v34, v101
	s_waitcnt vmcnt(2)
	v_fma_f32 v78, v32, v25, v28
	scratch_load_b128 v[28:31], off, off offset:1376 ; 16-byte Folded Reload
	s_waitcnt vmcnt(2)
	v_fma_f32 v102, v32, v102, v105
	scratch_load_b128 v[105:108], off, off offset:864 ; 16-byte Folded Reload
	v_fmac_f32_e32 v102, v33, v103
	s_waitcnt vmcnt(2)
	v_fma_f32 v85, v32, v52, v55
	scratch_load_b128 v[55:58], off, off offset:1488 ; 16-byte Folded Reload
	v_dual_fmac_f32 v191, v33, v97 :: v_dual_fmac_f32 v102, v34, v104
	s_delay_alu instid0(VALU_DEP_1)
	v_fmac_f32_e32 v191, v34, v98
	s_waitcnt vmcnt(2)
	v_fma_f32 v79, v32, v28, v31
	s_waitcnt vmcnt(1)
	v_fma_f32 v103, v32, v105, v108
	scratch_load_b128 v[108:111], off, off offset:880 ; 16-byte Folded Reload
	v_fmac_f32_e32 v103, v33, v106
	s_waitcnt vmcnt(1)
	v_fma_f32 v86, v32, v55, v58
	scratch_load_b128 v[58:61], off, off offset:1504 ; 16-byte Folded Reload
	v_fmac_f32_e32 v103, v34, v107
	s_waitcnt vmcnt(1)
	v_fma_f32 v105, v32, v108, v111
	scratch_load_b128 v[111:114], off, off offset:896 ; 16-byte Folded Reload
	s_waitcnt vmcnt(1)
	v_fma_f32 v87, v32, v58, v61
	scratch_load_b128 v[61:64], off, off offset:1520 ; 16-byte Folded Reload
	v_fmac_f32_e32 v87, v33, v59
	s_delay_alu instid0(VALU_DEP_1)
	v_fmac_f32_e32 v87, v34, v60
	s_waitcnt vmcnt(1)
	v_fma_f32 v106, v32, v111, v114
	scratch_load_b128 v[114:117], off, off offset:912 ; 16-byte Folded Reload
	v_fmac_f32_e32 v106, v33, v112
	s_waitcnt vmcnt(1)
	v_fma_f32 v88, v32, v61, v64
	s_delay_alu instid0(VALU_DEP_2) | instskip(SKIP_4) | instid1(VALU_DEP_1)
	v_fmac_f32_e32 v106, v34, v113
	s_waitcnt vmcnt(0)
	v_fma_f32 v108, v32, v114, v117
	scratch_load_b128 v[117:120], off, off offset:928 ; 16-byte Folded Reload
	v_fmac_f32_e32 v108, v33, v115
	v_dual_fmac_f32 v105, v33, v109 :: v_dual_fmac_f32 v108, v34, v116
	s_delay_alu instid0(VALU_DEP_1) | instskip(SKIP_4) | instid1(VALU_DEP_1)
	v_fmac_f32_e32 v105, v34, v110
	s_waitcnt vmcnt(0)
	v_fma_f32 v109, v32, v117, v120
	scratch_load_b128 v[120:123], off, off offset:944 ; 16-byte Folded Reload
	v_fmac_f32_e32 v109, v33, v118
	v_fmac_f32_e32 v109, v34, v119
	s_waitcnt vmcnt(0)
	v_fma_f32 v111, v32, v120, v123
	scratch_load_b128 v[123:126], off, off offset:960 ; 16-byte Folded Reload
	s_waitcnt vmcnt(0)
	v_fma_f32 v112, v32, v123, v126
	scratch_load_b128 v[126:129], off, off offset:976 ; 16-byte Folded Reload
	v_fmac_f32_e32 v112, v33, v124
	s_delay_alu instid0(VALU_DEP_1) | instskip(SKIP_4) | instid1(VALU_DEP_1)
	v_fmac_f32_e32 v112, v34, v125
	s_waitcnt vmcnt(0)
	v_fma_f32 v114, v32, v126, v129
	scratch_load_b128 v[129:132], off, off offset:992 ; 16-byte Folded Reload
	v_fmac_f32_e32 v114, v33, v127
	v_dual_fmac_f32 v111, v33, v121 :: v_dual_fmac_f32 v114, v34, v128
	s_delay_alu instid0(VALU_DEP_1) | instskip(SKIP_4) | instid1(VALU_DEP_1)
	v_fmac_f32_e32 v111, v34, v122
	s_waitcnt vmcnt(0)
	v_fma_f32 v115, v32, v129, v132
	scratch_load_b128 v[132:135], off, off offset:1008 ; 16-byte Folded Reload
	v_fmac_f32_e32 v115, v33, v130
	v_fmac_f32_e32 v115, v34, v131
	s_waitcnt vmcnt(0)
	v_fma_f32 v117, v32, v132, v135
	scratch_load_b128 v[135:138], off, off offset:1024 ; 16-byte Folded Reload
	s_waitcnt vmcnt(0)
	v_fma_f32 v118, v32, v135, v138
	scratch_load_b128 v[138:141], off, off offset:1040 ; 16-byte Folded Reload
	v_fmac_f32_e32 v118, v33, v136
	s_delay_alu instid0(VALU_DEP_1) | instskip(SKIP_4) | instid1(VALU_DEP_1)
	;; [unrolled: 21-line block ×4, first 2 shown]
	v_fmac_f32_e32 v65, v34, v161
	s_waitcnt vmcnt(0)
	v_fma_f32 v66, v32, v162, v165
	scratch_load_b128 v[165:168], off, off offset:1184 ; 16-byte Folded Reload
	v_fmac_f32_e32 v66, v33, v163
	v_dual_fmac_f32 v129, v33, v157 :: v_dual_fmac_f32 v66, v34, v164
	s_delay_alu instid0(VALU_DEP_1)
	v_fmac_f32_e32 v129, v34, v158
	s_waitcnt vmcnt(0)
	v_fma_f32 v67, v32, v165, v168
	scratch_load_b128 v[168:171], off, off offset:1200 ; 16-byte Folded Reload
	s_waitcnt vmcnt(0)
	v_fma_f32 v68, v32, v168, v171
	scratch_load_b128 v[171:174], off, off offset:1216 ; 16-byte Folded Reload
	v_fmac_f32_e32 v68, v33, v169
	s_delay_alu instid0(VALU_DEP_1) | instskip(SKIP_4) | instid1(VALU_DEP_1)
	v_fmac_f32_e32 v68, v34, v170
	s_waitcnt vmcnt(0)
	v_fma_f32 v69, v32, v171, v174
	scratch_load_b128 v[174:177], off, off offset:1232 ; 16-byte Folded Reload
	v_fmac_f32_e32 v69, v33, v172
	v_fmac_f32_e32 v69, v34, v173
	s_waitcnt vmcnt(0)
	v_fma_f32 v70, v32, v174, v177
	scratch_load_b128 v[177:180], off, off offset:1248 ; 16-byte Folded Reload
	v_fmac_f32_e32 v70, v33, v175
	s_delay_alu instid0(VALU_DEP_1) | instskip(NEXT) | instid1(VALU_DEP_1)
	v_dual_fmac_f32 v67, v33, v166 :: v_dual_fmac_f32 v70, v34, v176
	v_fmac_f32_e32 v67, v34, v167
	s_waitcnt vmcnt(0)
	v_fma_f32 v71, v32, v177, v180
	scratch_load_b128 v[180:183], off, off offset:1264 ; 16-byte Folded Reload
	s_waitcnt vmcnt(0)
	v_fma_f32 v72, v32, v180, v183
	scratch_load_b128 v[183:186], off, off offset:1280 ; 16-byte Folded Reload
	v_fmac_f32_e32 v72, v33, v181
	s_delay_alu instid0(VALU_DEP_1) | instskip(SKIP_4) | instid1(VALU_DEP_1)
	v_fmac_f32_e32 v72, v34, v182
	s_waitcnt vmcnt(0)
	v_fma_f32 v73, v32, v183, v186
	scratch_load_b128 v[186:189], off, off offset:1296 ; 16-byte Folded Reload
	v_fmac_f32_e32 v73, v33, v184
	v_dual_fmac_f32 v80, v33, v38 :: v_dual_fmac_f32 v73, v34, v185
	s_delay_alu instid0(VALU_DEP_1) | instskip(NEXT) | instid1(VALU_DEP_1)
	v_dual_fmac_f32 v79, v33, v29 :: v_dual_fmac_f32 v80, v34, v39
	v_dual_fmac_f32 v86, v33, v56 :: v_dual_fmac_f32 v79, v34, v30
	s_delay_alu instid0(VALU_DEP_1) | instskip(NEXT) | instid1(VALU_DEP_1)
	v_dual_fmac_f32 v83, v33, v47 :: v_dual_fmac_f32 v86, v34, v57
	;; [unrolled: 3-line block ×3, first 2 shown]
	v_fmac_f32_e32 v85, v34, v54
	s_waitcnt vmcnt(0)
	v_fma_f32 v74, v32, v186, v189
	s_delay_alu instid0(VALU_DEP_1) | instskip(NEXT) | instid1(VALU_DEP_1)
	v_fmac_f32_e32 v74, v33, v187
	v_dual_fmac_f32 v71, v33, v178 :: v_dual_fmac_f32 v74, v34, v188
	s_delay_alu instid0(VALU_DEP_1) | instskip(NEXT) | instid1(VALU_DEP_1)
	v_dual_fmac_f32 v78, v33, v26 :: v_dual_fmac_f32 v71, v34, v179
	v_fmac_f32_e32 v78, v34, v27
	v_dual_fmac_f32 v82, v33, v44 :: v_dual_fmac_f32 v75, v34, v18
	s_delay_alu instid0(VALU_DEP_1) | instskip(NEXT) | instid1(VALU_DEP_1)
	v_dual_fmac_f32 v77, v33, v23 :: v_dual_fmac_f32 v82, v34, v45
	v_dual_fmac_f32 v84, v33, v50 :: v_dual_fmac_f32 v77, v34, v24
	v_fmac_f32_e32 v81, v33, v41
	v_lshlrev_b64 v[32:33], 4, v[35:36]
	s_delay_alu instid0(VALU_DEP_3) | instskip(NEXT) | instid1(VALU_DEP_3)
	v_fmac_f32_e32 v84, v34, v51
	v_fmac_f32_e32 v81, v34, v42
	s_delay_alu instid0(VALU_DEP_3) | instskip(NEXT) | instid1(VALU_DEP_4)
	v_add_co_u32 v32, vcc_lo, s14, v32
	v_add_co_ci_u32_e32 v33, vcc_lo, s15, v33, vcc_lo
	global_load_b128 v[32:35], v[32:33], off
	s_waitcnt vmcnt(0)
	v_cmp_gt_f32_e64 s3, 0, v34
	v_cmp_lt_f32_e64 s0, 0, v34
	v_cmp_eq_u32_e64 s1, 0x46, v32
	v_cmp_eq_u32_e64 s4, 0x45, v32
	s_delay_alu instid0(VALU_DEP_4)
	v_cndmask_b32_e64 v32, 1.0, 0x40b00000, s3
	v_cndmask_b32_e64 v89, 0xff7fffff, 1.0, s3
.LBB4_28:                               ;   Parent Loop BB4_27 Depth=1
                                        ; =>  This Inner Loop Header: Depth=2
	global_load_b128 v[36:39], v20, s[18:19] offset:-8
	s_waitcnt vmcnt(0)
	v_ashrrev_i32_e32 v91, 31, v39
	v_mov_b32_e32 v90, v39
	s_delay_alu instid0(VALU_DEP_1) | instskip(NEXT) | instid1(VALU_DEP_1)
	v_lshlrev_b64 v[90:91], 4, v[90:91]
	v_add_co_u32 v90, vcc_lo, s14, v90
	s_delay_alu instid0(VALU_DEP_2) | instskip(SKIP_4) | instid1(VALU_DEP_2)
	v_add_co_ci_u32_e32 v91, vcc_lo, s15, v91, vcc_lo
	global_load_b128 v[95:98], v[90:91], off
	s_waitcnt vmcnt(0)
	v_add_f32_e32 v96, v33, v96
	v_cmp_lt_f32_e64 s6, 0, v97
	v_div_scale_f32 v39, null, v96, v96, 1.0
	s_delay_alu instid0(VALU_DEP_2) | instskip(NEXT) | instid1(VALU_DEP_1)
	s_and_b32 s6, s6, s3
	v_rcp_f32_e32 v90, v39
	s_waitcnt_depctr 0xfff
	v_fma_f32 v91, -v39, v90, 1.0
	s_delay_alu instid0(VALU_DEP_1) | instskip(SKIP_1) | instid1(VALU_DEP_1)
	v_fmac_f32_e32 v90, v91, v90
	v_div_scale_f32 v91, vcc_lo, 1.0, v96, 1.0
	v_mul_f32_e32 v92, v91, v90
	s_delay_alu instid0(VALU_DEP_1) | instskip(NEXT) | instid1(VALU_DEP_1)
	v_fma_f32 v93, -v39, v92, v91
	v_fmac_f32_e32 v92, v93, v90
	s_delay_alu instid0(VALU_DEP_1) | instskip(NEXT) | instid1(VALU_DEP_1)
	v_fma_f32 v39, -v39, v92, v91
	v_div_fmas_f32 v39, v39, v90, v92
	v_cmp_eq_u32_e32 vcc_lo, 0x46, v95
	s_and_b32 s5, vcc_lo, s1
	v_cmp_eq_u32_e32 vcc_lo, 0x45, v95
	v_cndmask_b32_e64 v91, 2.0, 4.0, s5
	v_cndmask_b32_e64 v92, 0.5, 0x3e800000, s5
	v_cmp_neq_f32_e64 s5, 0, v97
	s_or_b32 s22, vcc_lo, s4
	v_cmp_gt_f32_e32 vcc_lo, 0, v97
	v_cndmask_b32_e32 v90, v89, v32, vcc_lo
	s_and_b32 s23, vcc_lo, s0
	s_delay_alu instid0(VALU_DEP_1) | instskip(NEXT) | instid1(VALU_DEP_1)
	v_div_scale_f32 v94, null, v90, v90, 1.0
	v_rcp_f32_e32 v95, v94
	s_waitcnt_depctr 0xfff
	v_fma_f32 v99, -v94, v95, 1.0
	s_delay_alu instid0(VALU_DEP_1) | instskip(SKIP_4) | instid1(VALU_DEP_4)
	v_fmac_f32_e32 v95, v99, v95
	v_div_scale_f32 v99, vcc_lo, 1.0, v90, 1.0
	v_div_fixup_f32 v93, v39, v96, 1.0
	v_cndmask_b32_e64 v39, v97, -v97, s23
	v_cndmask_b32_e64 v97, v34, -v34, s6
	v_mul_f32_e32 v100, v99, v95
	s_delay_alu instid0(VALU_DEP_2) | instskip(NEXT) | instid1(VALU_DEP_2)
	v_add_f32_e32 v39, v39, v97
	v_fma_f32 v101, -v94, v100, v99
	s_delay_alu instid0(VALU_DEP_1) | instskip(NEXT) | instid1(VALU_DEP_1)
	v_dual_sub_f32 v97, v16, v36 :: v_dual_fmac_f32 v100, v101, v95
	v_fma_f32 v94, -v94, v100, v99
	v_sub_f32_e32 v99, v19, v38
	s_delay_alu instid0(VALU_DEP_2) | instskip(SKIP_1) | instid1(VALU_DEP_2)
	v_div_fmas_f32 v94, v94, v95, v100
	v_dual_mul_f32 v95, v35, v98 :: v_dual_sub_f32 v98, v17, v37
	v_div_fixup_f32 v94, v94, v90, 1.0
	s_delay_alu instid0(VALU_DEP_2) | instskip(NEXT) | instid1(VALU_DEP_1)
	v_mul_f32_e32 v98, v98, v98
	v_fmac_f32_e32 v98, v97, v97
	s_delay_alu instid0(VALU_DEP_1) | instskip(NEXT) | instid1(VALU_DEP_1)
	v_fmac_f32_e32 v98, v99, v99
	v_cmp_gt_f32_e32 vcc_lo, 0xf800000, v98
	v_mul_f32_e32 v97, 0x4f800000, v98
	s_delay_alu instid0(VALU_DEP_1) | instskip(NEXT) | instid1(VALU_DEP_1)
	v_cndmask_b32_e32 v97, v98, v97, vcc_lo
	v_sqrt_f32_e32 v98, v97
	s_waitcnt_depctr 0xfff
	v_add_nc_u32_e32 v99, -1, v98
	s_delay_alu instid0(VALU_DEP_1) | instskip(NEXT) | instid1(VALU_DEP_1)
	v_fma_f32 v100, -v99, v98, v97
	v_cmp_ge_f32_e64 s6, 0, v100
	v_add_nc_u32_e32 v100, 1, v98
	s_delay_alu instid0(VALU_DEP_2) | instskip(NEXT) | instid1(VALU_DEP_2)
	v_cndmask_b32_e64 v99, v98, v99, s6
	v_fma_f32 v98, -v100, v98, v97
	s_delay_alu instid0(VALU_DEP_1) | instskip(NEXT) | instid1(VALU_DEP_1)
	v_cmp_lt_f32_e64 s6, 0, v98
	v_cndmask_b32_e64 v98, v99, v100, s6
	s_delay_alu instid0(VALU_DEP_1) | instskip(NEXT) | instid1(VALU_DEP_1)
	v_mul_f32_e32 v99, 0x37800000, v98
	v_cndmask_b32_e32 v98, v98, v99, vcc_lo
	v_cmp_class_f32_e64 vcc_lo, v97, 0x260
	s_delay_alu instid0(VALU_DEP_2) | instskip(NEXT) | instid1(VALU_DEP_1)
	v_cndmask_b32_e32 v97, v98, v97, vcc_lo
	v_sub_f32_e32 v98, v97, v96
	v_fma_f32 v97, -v93, v97, 1.0
	s_delay_alu instid0(VALU_DEP_2) | instskip(SKIP_2) | instid1(VALU_DEP_1)
	v_cmp_gt_f32_e32 vcc_lo, 0, v98
	v_cmp_lt_f32_e64 s6, v98, v91
	v_cndmask_b32_e64 v99, 0, 0x42980000, vcc_lo
	v_fmac_f32_e32 v0, v97, v99
	v_fma_f32 v97, -v92, v98, 1.0
	s_delay_alu instid0(VALU_DEP_4) | instskip(SKIP_1) | instid1(VALU_DEP_3)
	v_cndmask_b32_e64 v99, 0, 1.0, s6
	v_cmp_lt_f32_e64 s6, v98, v90
	v_cndmask_b32_e64 v97, v97, 1.0, vcc_lo
	s_delay_alu instid0(VALU_DEP_2) | instskip(NEXT) | instid1(VALU_DEP_1)
	s_and_b32 s6, s5, s6
	v_mul_f32_e32 v97, v99, v97
	v_sub_f32_e32 v99, v102, v38
	s_delay_alu instid0(VALU_DEP_2) | instskip(NEXT) | instid1(VALU_DEP_1)
	v_mul_f32_e32 v97, v95, v97
	v_cndmask_b32_e64 v97, v97, -|v97|, s22
	s_delay_alu instid0(VALU_DEP_1) | instskip(SKIP_2) | instid1(VALU_DEP_2)
	v_fmac_f32_e32 v0, 0x42340000, v97
	v_fma_f32 v97, -v94, v98, 1.0
	v_cndmask_b32_e64 v98, 0, 1.0, s6
	v_cndmask_b32_e64 v97, v97, 1.0, vcc_lo
	s_delay_alu instid0(VALU_DEP_2) | instskip(NEXT) | instid1(VALU_DEP_1)
	v_mul_f32_e32 v98, v39, v98
	v_fmac_f32_e32 v0, v97, v98
	v_dual_sub_f32 v98, v190, v37 :: v_dual_sub_f32 v97, v191, v36
	s_delay_alu instid0(VALU_DEP_1) | instskip(NEXT) | instid1(VALU_DEP_1)
	v_mul_f32_e32 v98, v98, v98
	v_fmac_f32_e32 v98, v97, v97
	s_delay_alu instid0(VALU_DEP_1) | instskip(NEXT) | instid1(VALU_DEP_1)
	v_fmac_f32_e32 v98, v99, v99
	v_cmp_gt_f32_e32 vcc_lo, 0xf800000, v98
	v_mul_f32_e32 v97, 0x4f800000, v98
	s_delay_alu instid0(VALU_DEP_1) | instskip(NEXT) | instid1(VALU_DEP_1)
	v_cndmask_b32_e32 v97, v98, v97, vcc_lo
	v_sqrt_f32_e32 v98, v97
	s_waitcnt_depctr 0xfff
	v_add_nc_u32_e32 v99, -1, v98
	s_delay_alu instid0(VALU_DEP_1) | instskip(NEXT) | instid1(VALU_DEP_1)
	v_fma_f32 v100, -v99, v98, v97
	v_cmp_ge_f32_e64 s6, 0, v100
	v_add_nc_u32_e32 v100, 1, v98
	s_delay_alu instid0(VALU_DEP_2) | instskip(NEXT) | instid1(VALU_DEP_2)
	v_cndmask_b32_e64 v99, v98, v99, s6
	v_fma_f32 v98, -v100, v98, v97
	s_delay_alu instid0(VALU_DEP_1) | instskip(NEXT) | instid1(VALU_DEP_1)
	v_cmp_lt_f32_e64 s6, 0, v98
	v_cndmask_b32_e64 v98, v99, v100, s6
	s_delay_alu instid0(VALU_DEP_1) | instskip(NEXT) | instid1(VALU_DEP_1)
	v_mul_f32_e32 v99, 0x37800000, v98
	v_cndmask_b32_e32 v98, v98, v99, vcc_lo
	v_cmp_class_f32_e64 vcc_lo, v97, 0x260
	s_delay_alu instid0(VALU_DEP_2) | instskip(NEXT) | instid1(VALU_DEP_1)
	v_cndmask_b32_e32 v97, v98, v97, vcc_lo
	v_sub_f32_e32 v98, v97, v96
	v_fma_f32 v97, -v93, v97, 1.0
	s_delay_alu instid0(VALU_DEP_2) | instskip(SKIP_2) | instid1(VALU_DEP_1)
	v_cmp_gt_f32_e32 vcc_lo, 0, v98
	v_cmp_lt_f32_e64 s6, v98, v91
	v_cndmask_b32_e64 v99, 0, 0x42980000, vcc_lo
	v_fmac_f32_e32 v1, v97, v99
	v_fma_f32 v97, -v92, v98, 1.0
	s_delay_alu instid0(VALU_DEP_4) | instskip(SKIP_1) | instid1(VALU_DEP_3)
	v_cndmask_b32_e64 v99, 0, 1.0, s6
	v_cmp_lt_f32_e64 s6, v98, v90
	v_cndmask_b32_e64 v97, v97, 1.0, vcc_lo
	s_delay_alu instid0(VALU_DEP_2) | instskip(NEXT) | instid1(VALU_DEP_1)
	s_and_b32 s6, s5, s6
	v_mul_f32_e32 v97, v99, v97
	v_sub_f32_e32 v99, v106, v38
	s_delay_alu instid0(VALU_DEP_2) | instskip(NEXT) | instid1(VALU_DEP_1)
	v_mul_f32_e32 v97, v95, v97
	v_cndmask_b32_e64 v97, v97, -|v97|, s22
	s_delay_alu instid0(VALU_DEP_1) | instskip(SKIP_2) | instid1(VALU_DEP_2)
	v_fmac_f32_e32 v1, 0x42340000, v97
	v_fma_f32 v97, -v94, v98, 1.0
	v_cndmask_b32_e64 v98, 0, 1.0, s6
	v_cndmask_b32_e64 v97, v97, 1.0, vcc_lo
	s_delay_alu instid0(VALU_DEP_2) | instskip(NEXT) | instid1(VALU_DEP_1)
	v_mul_f32_e32 v98, v39, v98
	v_fmac_f32_e32 v1, v97, v98
	v_dual_sub_f32 v98, v105, v37 :: v_dual_sub_f32 v97, v103, v36
	s_delay_alu instid0(VALU_DEP_1) | instskip(NEXT) | instid1(VALU_DEP_1)
	;; [unrolled: 56-line block ×3, first 2 shown]
	v_mul_f32_e32 v98, v98, v98
	v_fmac_f32_e32 v98, v97, v97
	s_delay_alu instid0(VALU_DEP_1) | instskip(NEXT) | instid1(VALU_DEP_1)
	v_fmac_f32_e32 v98, v99, v99
	v_cmp_gt_f32_e32 vcc_lo, 0xf800000, v98
	v_mul_f32_e32 v97, 0x4f800000, v98
	s_delay_alu instid0(VALU_DEP_1) | instskip(NEXT) | instid1(VALU_DEP_1)
	v_cndmask_b32_e32 v97, v98, v97, vcc_lo
	v_sqrt_f32_e32 v98, v97
	s_waitcnt_depctr 0xfff
	v_add_nc_u32_e32 v99, -1, v98
	s_delay_alu instid0(VALU_DEP_1) | instskip(NEXT) | instid1(VALU_DEP_1)
	v_fma_f32 v100, -v99, v98, v97
	v_cmp_ge_f32_e64 s6, 0, v100
	v_add_nc_u32_e32 v100, 1, v98
	s_delay_alu instid0(VALU_DEP_2) | instskip(NEXT) | instid1(VALU_DEP_2)
	v_cndmask_b32_e64 v99, v98, v99, s6
	v_fma_f32 v98, -v100, v98, v97
	s_delay_alu instid0(VALU_DEP_1) | instskip(NEXT) | instid1(VALU_DEP_1)
	v_cmp_lt_f32_e64 s6, 0, v98
	v_cndmask_b32_e64 v98, v99, v100, s6
	s_delay_alu instid0(VALU_DEP_1) | instskip(NEXT) | instid1(VALU_DEP_1)
	v_mul_f32_e32 v99, 0x37800000, v98
	v_cndmask_b32_e32 v98, v98, v99, vcc_lo
	v_cmp_class_f32_e64 vcc_lo, v97, 0x260
	s_delay_alu instid0(VALU_DEP_2) | instskip(NEXT) | instid1(VALU_DEP_1)
	v_cndmask_b32_e32 v97, v98, v97, vcc_lo
	v_sub_f32_e32 v98, v97, v96
	v_fma_f32 v97, -v93, v97, 1.0
	s_delay_alu instid0(VALU_DEP_2) | instskip(SKIP_2) | instid1(VALU_DEP_1)
	v_cmp_gt_f32_e32 vcc_lo, 0, v98
	v_cmp_lt_f32_e64 s6, v98, v91
	v_cndmask_b32_e64 v99, 0, 0x42980000, vcc_lo
	v_fmac_f32_e32 v3, v97, v99
	v_fma_f32 v97, -v92, v98, 1.0
	s_delay_alu instid0(VALU_DEP_4) | instskip(SKIP_1) | instid1(VALU_DEP_3)
	v_cndmask_b32_e64 v99, 0, 1.0, s6
	v_cmp_lt_f32_e64 s6, v98, v90
	v_cndmask_b32_e64 v97, v97, 1.0, vcc_lo
	s_delay_alu instid0(VALU_DEP_2) | instskip(NEXT) | instid1(VALU_DEP_1)
	s_and_b32 s6, s5, s6
	v_mul_f32_e32 v97, v99, v97
	v_sub_f32_e32 v99, v115, v38
	s_delay_alu instid0(VALU_DEP_2) | instskip(NEXT) | instid1(VALU_DEP_1)
	v_mul_f32_e32 v97, v95, v97
	v_cndmask_b32_e64 v97, v97, -|v97|, s22
	s_delay_alu instid0(VALU_DEP_1) | instskip(SKIP_2) | instid1(VALU_DEP_2)
	v_fmac_f32_e32 v3, 0x42340000, v97
	v_fma_f32 v97, -v94, v98, 1.0
	v_cndmask_b32_e64 v98, 0, 1.0, s6
	v_cndmask_b32_e64 v97, v97, 1.0, vcc_lo
	s_delay_alu instid0(VALU_DEP_2) | instskip(NEXT) | instid1(VALU_DEP_1)
	v_mul_f32_e32 v98, v39, v98
	v_dual_fmac_f32 v3, v97, v98 :: v_dual_sub_f32 v98, v114, v37
	s_delay_alu instid0(VALU_DEP_1) | instskip(NEXT) | instid1(VALU_DEP_1)
	v_dual_sub_f32 v97, v112, v36 :: v_dual_mul_f32 v98, v98, v98
	v_fmac_f32_e32 v98, v97, v97
	s_delay_alu instid0(VALU_DEP_1) | instskip(NEXT) | instid1(VALU_DEP_1)
	v_fmac_f32_e32 v98, v99, v99
	v_cmp_gt_f32_e32 vcc_lo, 0xf800000, v98
	v_mul_f32_e32 v97, 0x4f800000, v98
	s_delay_alu instid0(VALU_DEP_1) | instskip(NEXT) | instid1(VALU_DEP_1)
	v_cndmask_b32_e32 v97, v98, v97, vcc_lo
	v_sqrt_f32_e32 v98, v97
	s_waitcnt_depctr 0xfff
	v_add_nc_u32_e32 v99, -1, v98
	s_delay_alu instid0(VALU_DEP_1) | instskip(NEXT) | instid1(VALU_DEP_1)
	v_fma_f32 v100, -v99, v98, v97
	v_cmp_ge_f32_e64 s6, 0, v100
	v_add_nc_u32_e32 v100, 1, v98
	s_delay_alu instid0(VALU_DEP_2) | instskip(NEXT) | instid1(VALU_DEP_2)
	v_cndmask_b32_e64 v99, v98, v99, s6
	v_fma_f32 v98, -v100, v98, v97
	s_delay_alu instid0(VALU_DEP_1) | instskip(NEXT) | instid1(VALU_DEP_1)
	v_cmp_lt_f32_e64 s6, 0, v98
	v_cndmask_b32_e64 v98, v99, v100, s6
	s_delay_alu instid0(VALU_DEP_1) | instskip(NEXT) | instid1(VALU_DEP_1)
	v_mul_f32_e32 v99, 0x37800000, v98
	v_cndmask_b32_e32 v98, v98, v99, vcc_lo
	v_cmp_class_f32_e64 vcc_lo, v97, 0x260
	s_delay_alu instid0(VALU_DEP_2) | instskip(NEXT) | instid1(VALU_DEP_1)
	v_cndmask_b32_e32 v97, v98, v97, vcc_lo
	v_sub_f32_e32 v98, v97, v96
	v_fma_f32 v97, -v93, v97, 1.0
	s_delay_alu instid0(VALU_DEP_2) | instskip(SKIP_2) | instid1(VALU_DEP_1)
	v_cmp_gt_f32_e32 vcc_lo, 0, v98
	v_cmp_lt_f32_e64 s6, v98, v91
	v_cndmask_b32_e64 v99, 0, 0x42980000, vcc_lo
	v_fmac_f32_e32 v4, v97, v99
	v_fma_f32 v97, -v92, v98, 1.0
	s_delay_alu instid0(VALU_DEP_4) | instskip(SKIP_1) | instid1(VALU_DEP_3)
	v_cndmask_b32_e64 v99, 0, 1.0, s6
	v_cmp_lt_f32_e64 s6, v98, v90
	v_cndmask_b32_e64 v97, v97, 1.0, vcc_lo
	s_delay_alu instid0(VALU_DEP_2) | instskip(NEXT) | instid1(VALU_DEP_1)
	s_and_b32 s6, s5, s6
	v_mul_f32_e32 v97, v99, v97
	v_sub_f32_e32 v99, v120, v38
	s_delay_alu instid0(VALU_DEP_2) | instskip(NEXT) | instid1(VALU_DEP_1)
	v_mul_f32_e32 v97, v95, v97
	v_cndmask_b32_e64 v97, v97, -|v97|, s22
	s_delay_alu instid0(VALU_DEP_1) | instskip(SKIP_2) | instid1(VALU_DEP_2)
	v_fmac_f32_e32 v4, 0x42340000, v97
	v_fma_f32 v97, -v94, v98, 1.0
	v_cndmask_b32_e64 v98, 0, 1.0, s6
	v_cndmask_b32_e64 v97, v97, 1.0, vcc_lo
	s_delay_alu instid0(VALU_DEP_2) | instskip(NEXT) | instid1(VALU_DEP_1)
	v_mul_f32_e32 v98, v39, v98
	v_fmac_f32_e32 v4, v97, v98
	v_dual_sub_f32 v98, v118, v37 :: v_dual_sub_f32 v97, v117, v36
	s_delay_alu instid0(VALU_DEP_1) | instskip(NEXT) | instid1(VALU_DEP_1)
	v_mul_f32_e32 v98, v98, v98
	v_fmac_f32_e32 v98, v97, v97
	s_delay_alu instid0(VALU_DEP_1) | instskip(NEXT) | instid1(VALU_DEP_1)
	v_fmac_f32_e32 v98, v99, v99
	v_cmp_gt_f32_e32 vcc_lo, 0xf800000, v98
	v_mul_f32_e32 v97, 0x4f800000, v98
	s_delay_alu instid0(VALU_DEP_1) | instskip(NEXT) | instid1(VALU_DEP_1)
	v_cndmask_b32_e32 v97, v98, v97, vcc_lo
	v_sqrt_f32_e32 v98, v97
	s_waitcnt_depctr 0xfff
	v_add_nc_u32_e32 v99, -1, v98
	s_delay_alu instid0(VALU_DEP_1) | instskip(NEXT) | instid1(VALU_DEP_1)
	v_fma_f32 v100, -v99, v98, v97
	v_cmp_ge_f32_e64 s6, 0, v100
	v_add_nc_u32_e32 v100, 1, v98
	s_delay_alu instid0(VALU_DEP_2) | instskip(NEXT) | instid1(VALU_DEP_2)
	v_cndmask_b32_e64 v99, v98, v99, s6
	v_fma_f32 v98, -v100, v98, v97
	s_delay_alu instid0(VALU_DEP_1) | instskip(NEXT) | instid1(VALU_DEP_1)
	v_cmp_lt_f32_e64 s6, 0, v98
	v_cndmask_b32_e64 v98, v99, v100, s6
	s_delay_alu instid0(VALU_DEP_1) | instskip(NEXT) | instid1(VALU_DEP_1)
	v_mul_f32_e32 v99, 0x37800000, v98
	v_cndmask_b32_e32 v98, v98, v99, vcc_lo
	v_cmp_class_f32_e64 vcc_lo, v97, 0x260
	s_delay_alu instid0(VALU_DEP_2) | instskip(NEXT) | instid1(VALU_DEP_1)
	v_cndmask_b32_e32 v97, v98, v97, vcc_lo
	v_sub_f32_e32 v98, v97, v96
	v_fma_f32 v97, -v93, v97, 1.0
	s_delay_alu instid0(VALU_DEP_2) | instskip(SKIP_2) | instid1(VALU_DEP_1)
	v_cmp_gt_f32_e32 vcc_lo, 0, v98
	v_cmp_lt_f32_e64 s6, v98, v91
	v_cndmask_b32_e64 v99, 0, 0x42980000, vcc_lo
	v_fmac_f32_e32 v5, v97, v99
	v_fma_f32 v97, -v92, v98, 1.0
	s_delay_alu instid0(VALU_DEP_4) | instskip(SKIP_1) | instid1(VALU_DEP_3)
	v_cndmask_b32_e64 v99, 0, 1.0, s6
	v_cmp_lt_f32_e64 s6, v98, v90
	v_cndmask_b32_e64 v97, v97, 1.0, vcc_lo
	s_delay_alu instid0(VALU_DEP_2) | instskip(NEXT) | instid1(VALU_DEP_1)
	s_and_b32 s6, s5, s6
	v_mul_f32_e32 v97, v99, v97
	v_sub_f32_e32 v99, v124, v38
	s_delay_alu instid0(VALU_DEP_2) | instskip(NEXT) | instid1(VALU_DEP_1)
	v_mul_f32_e32 v97, v95, v97
	v_cndmask_b32_e64 v97, v97, -|v97|, s22
	s_delay_alu instid0(VALU_DEP_1) | instskip(SKIP_2) | instid1(VALU_DEP_2)
	v_fmac_f32_e32 v5, 0x42340000, v97
	v_fma_f32 v97, -v94, v98, 1.0
	v_cndmask_b32_e64 v98, 0, 1.0, s6
	v_cndmask_b32_e64 v97, v97, 1.0, vcc_lo
	s_delay_alu instid0(VALU_DEP_2) | instskip(NEXT) | instid1(VALU_DEP_1)
	v_mul_f32_e32 v98, v39, v98
	v_dual_fmac_f32 v5, v97, v98 :: v_dual_sub_f32 v98, v123, v37
	s_delay_alu instid0(VALU_DEP_1) | instskip(NEXT) | instid1(VALU_DEP_1)
	v_dual_sub_f32 v97, v121, v36 :: v_dual_mul_f32 v98, v98, v98
	v_fmac_f32_e32 v98, v97, v97
	s_delay_alu instid0(VALU_DEP_1) | instskip(NEXT) | instid1(VALU_DEP_1)
	v_fmac_f32_e32 v98, v99, v99
	v_cmp_gt_f32_e32 vcc_lo, 0xf800000, v98
	v_mul_f32_e32 v97, 0x4f800000, v98
	s_delay_alu instid0(VALU_DEP_1) | instskip(NEXT) | instid1(VALU_DEP_1)
	v_cndmask_b32_e32 v97, v98, v97, vcc_lo
	v_sqrt_f32_e32 v98, v97
	s_waitcnt_depctr 0xfff
	v_add_nc_u32_e32 v99, -1, v98
	s_delay_alu instid0(VALU_DEP_1) | instskip(NEXT) | instid1(VALU_DEP_1)
	v_fma_f32 v100, -v99, v98, v97
	v_cmp_ge_f32_e64 s6, 0, v100
	v_add_nc_u32_e32 v100, 1, v98
	s_delay_alu instid0(VALU_DEP_2) | instskip(NEXT) | instid1(VALU_DEP_2)
	v_cndmask_b32_e64 v99, v98, v99, s6
	v_fma_f32 v98, -v100, v98, v97
	s_delay_alu instid0(VALU_DEP_1) | instskip(NEXT) | instid1(VALU_DEP_1)
	v_cmp_lt_f32_e64 s6, 0, v98
	v_cndmask_b32_e64 v98, v99, v100, s6
	s_delay_alu instid0(VALU_DEP_1) | instskip(NEXT) | instid1(VALU_DEP_1)
	v_mul_f32_e32 v99, 0x37800000, v98
	v_cndmask_b32_e32 v98, v98, v99, vcc_lo
	v_cmp_class_f32_e64 vcc_lo, v97, 0x260
	s_delay_alu instid0(VALU_DEP_2) | instskip(NEXT) | instid1(VALU_DEP_1)
	v_cndmask_b32_e32 v97, v98, v97, vcc_lo
	v_sub_f32_e32 v98, v97, v96
	v_fma_f32 v97, -v93, v97, 1.0
	s_delay_alu instid0(VALU_DEP_2) | instskip(SKIP_2) | instid1(VALU_DEP_1)
	v_cmp_gt_f32_e32 vcc_lo, 0, v98
	v_cmp_lt_f32_e64 s6, v98, v91
	v_cndmask_b32_e64 v99, 0, 0x42980000, vcc_lo
	v_fmac_f32_e32 v6, v97, v99
	v_fma_f32 v97, -v92, v98, 1.0
	s_delay_alu instid0(VALU_DEP_4) | instskip(SKIP_1) | instid1(VALU_DEP_3)
	v_cndmask_b32_e64 v99, 0, 1.0, s6
	v_cmp_lt_f32_e64 s6, v98, v90
	v_cndmask_b32_e64 v97, v97, 1.0, vcc_lo
	s_delay_alu instid0(VALU_DEP_2) | instskip(NEXT) | instid1(VALU_DEP_1)
	s_and_b32 s6, s5, s6
	v_mul_f32_e32 v97, v99, v97
	v_sub_f32_e32 v99, v129, v38
	s_delay_alu instid0(VALU_DEP_2) | instskip(NEXT) | instid1(VALU_DEP_1)
	v_mul_f32_e32 v97, v95, v97
	v_cndmask_b32_e64 v97, v97, -|v97|, s22
	s_delay_alu instid0(VALU_DEP_1) | instskip(SKIP_2) | instid1(VALU_DEP_2)
	v_fmac_f32_e32 v6, 0x42340000, v97
	v_fma_f32 v97, -v94, v98, 1.0
	v_cndmask_b32_e64 v98, 0, 1.0, s6
	v_cndmask_b32_e64 v97, v97, 1.0, vcc_lo
	s_delay_alu instid0(VALU_DEP_2) | instskip(NEXT) | instid1(VALU_DEP_1)
	v_mul_f32_e32 v98, v39, v98
	v_fmac_f32_e32 v6, v97, v98
	v_dual_sub_f32 v98, v127, v37 :: v_dual_sub_f32 v97, v126, v36
	s_delay_alu instid0(VALU_DEP_1) | instskip(NEXT) | instid1(VALU_DEP_1)
	v_mul_f32_e32 v98, v98, v98
	v_fmac_f32_e32 v98, v97, v97
	s_delay_alu instid0(VALU_DEP_1) | instskip(NEXT) | instid1(VALU_DEP_1)
	v_fmac_f32_e32 v98, v99, v99
	v_cmp_gt_f32_e32 vcc_lo, 0xf800000, v98
	v_mul_f32_e32 v97, 0x4f800000, v98
	s_delay_alu instid0(VALU_DEP_1) | instskip(NEXT) | instid1(VALU_DEP_1)
	v_cndmask_b32_e32 v97, v98, v97, vcc_lo
	v_sqrt_f32_e32 v98, v97
	s_waitcnt_depctr 0xfff
	v_add_nc_u32_e32 v99, -1, v98
	s_delay_alu instid0(VALU_DEP_1) | instskip(NEXT) | instid1(VALU_DEP_1)
	v_fma_f32 v100, -v99, v98, v97
	v_cmp_ge_f32_e64 s6, 0, v100
	v_add_nc_u32_e32 v100, 1, v98
	s_delay_alu instid0(VALU_DEP_2) | instskip(NEXT) | instid1(VALU_DEP_2)
	v_cndmask_b32_e64 v99, v98, v99, s6
	v_fma_f32 v98, -v100, v98, v97
	s_delay_alu instid0(VALU_DEP_1) | instskip(NEXT) | instid1(VALU_DEP_1)
	v_cmp_lt_f32_e64 s6, 0, v98
	v_cndmask_b32_e64 v98, v99, v100, s6
	s_delay_alu instid0(VALU_DEP_1) | instskip(NEXT) | instid1(VALU_DEP_1)
	v_mul_f32_e32 v99, 0x37800000, v98
	v_cndmask_b32_e32 v98, v98, v99, vcc_lo
	v_cmp_class_f32_e64 vcc_lo, v97, 0x260
	s_delay_alu instid0(VALU_DEP_2) | instskip(NEXT) | instid1(VALU_DEP_1)
	v_cndmask_b32_e32 v97, v98, v97, vcc_lo
	v_sub_f32_e32 v98, v97, v96
	v_fma_f32 v97, -v93, v97, 1.0
	s_delay_alu instid0(VALU_DEP_2) | instskip(SKIP_2) | instid1(VALU_DEP_1)
	v_cmp_gt_f32_e32 vcc_lo, 0, v98
	v_cmp_lt_f32_e64 s6, v98, v91
	v_cndmask_b32_e64 v99, 0, 0x42980000, vcc_lo
	v_fmac_f32_e32 v7, v97, v99
	v_fma_f32 v97, -v92, v98, 1.0
	s_delay_alu instid0(VALU_DEP_4) | instskip(SKIP_1) | instid1(VALU_DEP_3)
	v_cndmask_b32_e64 v99, 0, 1.0, s6
	v_cmp_lt_f32_e64 s6, v98, v90
	v_cndmask_b32_e64 v97, v97, 1.0, vcc_lo
	s_delay_alu instid0(VALU_DEP_2) | instskip(NEXT) | instid1(VALU_DEP_1)
	s_and_b32 s6, s5, s6
	v_mul_f32_e32 v97, v99, v97
	v_sub_f32_e32 v99, v67, v38
	s_delay_alu instid0(VALU_DEP_2) | instskip(NEXT) | instid1(VALU_DEP_1)
	v_mul_f32_e32 v97, v95, v97
	v_cndmask_b32_e64 v97, v97, -|v97|, s22
	s_delay_alu instid0(VALU_DEP_1) | instskip(SKIP_2) | instid1(VALU_DEP_2)
	v_fmac_f32_e32 v7, 0x42340000, v97
	v_fma_f32 v97, -v94, v98, 1.0
	v_cndmask_b32_e64 v98, 0, 1.0, s6
	v_cndmask_b32_e64 v97, v97, 1.0, vcc_lo
	s_delay_alu instid0(VALU_DEP_2) | instskip(NEXT) | instid1(VALU_DEP_1)
	v_mul_f32_e32 v98, v39, v98
	v_dual_fmac_f32 v7, v97, v98 :: v_dual_sub_f32 v98, v66, v37
	s_delay_alu instid0(VALU_DEP_1) | instskip(NEXT) | instid1(VALU_DEP_1)
	v_dual_sub_f32 v97, v65, v36 :: v_dual_mul_f32 v98, v98, v98
	v_fmac_f32_e32 v98, v97, v97
	s_delay_alu instid0(VALU_DEP_1) | instskip(NEXT) | instid1(VALU_DEP_1)
	v_fmac_f32_e32 v98, v99, v99
	v_cmp_gt_f32_e32 vcc_lo, 0xf800000, v98
	v_mul_f32_e32 v97, 0x4f800000, v98
	s_delay_alu instid0(VALU_DEP_1) | instskip(NEXT) | instid1(VALU_DEP_1)
	v_cndmask_b32_e32 v97, v98, v97, vcc_lo
	v_sqrt_f32_e32 v98, v97
	s_waitcnt_depctr 0xfff
	v_add_nc_u32_e32 v99, -1, v98
	s_delay_alu instid0(VALU_DEP_1) | instskip(NEXT) | instid1(VALU_DEP_1)
	v_fma_f32 v100, -v99, v98, v97
	v_cmp_ge_f32_e64 s6, 0, v100
	v_add_nc_u32_e32 v100, 1, v98
	s_delay_alu instid0(VALU_DEP_2) | instskip(NEXT) | instid1(VALU_DEP_2)
	v_cndmask_b32_e64 v99, v98, v99, s6
	v_fma_f32 v98, -v100, v98, v97
	s_delay_alu instid0(VALU_DEP_1) | instskip(NEXT) | instid1(VALU_DEP_1)
	v_cmp_lt_f32_e64 s6, 0, v98
	v_cndmask_b32_e64 v98, v99, v100, s6
	s_delay_alu instid0(VALU_DEP_1) | instskip(NEXT) | instid1(VALU_DEP_1)
	v_mul_f32_e32 v99, 0x37800000, v98
	v_cndmask_b32_e32 v98, v98, v99, vcc_lo
	v_cmp_class_f32_e64 vcc_lo, v97, 0x260
	s_delay_alu instid0(VALU_DEP_2) | instskip(NEXT) | instid1(VALU_DEP_1)
	v_cndmask_b32_e32 v97, v98, v97, vcc_lo
	v_sub_f32_e32 v98, v97, v96
	v_fma_f32 v97, -v93, v97, 1.0
	s_delay_alu instid0(VALU_DEP_2) | instskip(SKIP_2) | instid1(VALU_DEP_1)
	v_cmp_gt_f32_e32 vcc_lo, 0, v98
	v_cmp_lt_f32_e64 s6, v98, v91
	v_cndmask_b32_e64 v99, 0, 0x42980000, vcc_lo
	v_fmac_f32_e32 v8, v97, v99
	v_fma_f32 v97, -v92, v98, 1.0
	s_delay_alu instid0(VALU_DEP_4) | instskip(SKIP_1) | instid1(VALU_DEP_3)
	v_cndmask_b32_e64 v99, 0, 1.0, s6
	v_cmp_lt_f32_e64 s6, v98, v90
	v_cndmask_b32_e64 v97, v97, 1.0, vcc_lo
	s_delay_alu instid0(VALU_DEP_2) | instskip(NEXT) | instid1(VALU_DEP_1)
	s_and_b32 s6, s5, s6
	v_mul_f32_e32 v97, v99, v97
	v_sub_f32_e32 v99, v70, v38
	s_delay_alu instid0(VALU_DEP_2) | instskip(NEXT) | instid1(VALU_DEP_1)
	v_mul_f32_e32 v97, v95, v97
	v_cndmask_b32_e64 v97, v97, -|v97|, s22
	s_delay_alu instid0(VALU_DEP_1) | instskip(SKIP_2) | instid1(VALU_DEP_2)
	v_fmac_f32_e32 v8, 0x42340000, v97
	v_fma_f32 v97, -v94, v98, 1.0
	v_cndmask_b32_e64 v98, 0, 1.0, s6
	v_cndmask_b32_e64 v97, v97, 1.0, vcc_lo
	s_delay_alu instid0(VALU_DEP_2) | instskip(NEXT) | instid1(VALU_DEP_1)
	v_mul_f32_e32 v98, v39, v98
	v_fmac_f32_e32 v8, v97, v98
	v_dual_sub_f32 v98, v69, v37 :: v_dual_sub_f32 v97, v68, v36
	s_delay_alu instid0(VALU_DEP_1) | instskip(NEXT) | instid1(VALU_DEP_1)
	v_mul_f32_e32 v98, v98, v98
	v_fmac_f32_e32 v98, v97, v97
	s_delay_alu instid0(VALU_DEP_1) | instskip(NEXT) | instid1(VALU_DEP_1)
	v_fmac_f32_e32 v98, v99, v99
	v_cmp_gt_f32_e32 vcc_lo, 0xf800000, v98
	v_mul_f32_e32 v97, 0x4f800000, v98
	s_delay_alu instid0(VALU_DEP_1) | instskip(NEXT) | instid1(VALU_DEP_1)
	v_cndmask_b32_e32 v97, v98, v97, vcc_lo
	v_sqrt_f32_e32 v98, v97
	s_waitcnt_depctr 0xfff
	v_add_nc_u32_e32 v99, -1, v98
	s_delay_alu instid0(VALU_DEP_1) | instskip(NEXT) | instid1(VALU_DEP_1)
	v_fma_f32 v100, -v99, v98, v97
	v_cmp_ge_f32_e64 s6, 0, v100
	v_add_nc_u32_e32 v100, 1, v98
	s_delay_alu instid0(VALU_DEP_2) | instskip(NEXT) | instid1(VALU_DEP_2)
	v_cndmask_b32_e64 v99, v98, v99, s6
	v_fma_f32 v98, -v100, v98, v97
	s_delay_alu instid0(VALU_DEP_1) | instskip(NEXT) | instid1(VALU_DEP_1)
	v_cmp_lt_f32_e64 s6, 0, v98
	v_cndmask_b32_e64 v98, v99, v100, s6
	s_delay_alu instid0(VALU_DEP_1) | instskip(NEXT) | instid1(VALU_DEP_1)
	v_mul_f32_e32 v99, 0x37800000, v98
	v_cndmask_b32_e32 v98, v98, v99, vcc_lo
	v_cmp_class_f32_e64 vcc_lo, v97, 0x260
	s_delay_alu instid0(VALU_DEP_2) | instskip(NEXT) | instid1(VALU_DEP_1)
	v_cndmask_b32_e32 v97, v98, v97, vcc_lo
	v_sub_f32_e32 v98, v97, v96
	v_fma_f32 v97, -v93, v97, 1.0
	s_delay_alu instid0(VALU_DEP_2) | instskip(SKIP_2) | instid1(VALU_DEP_1)
	v_cmp_gt_f32_e32 vcc_lo, 0, v98
	v_cmp_lt_f32_e64 s6, v98, v91
	v_cndmask_b32_e64 v99, 0, 0x42980000, vcc_lo
	v_fmac_f32_e32 v9, v97, v99
	v_fma_f32 v97, -v92, v98, 1.0
	s_delay_alu instid0(VALU_DEP_4) | instskip(SKIP_1) | instid1(VALU_DEP_3)
	v_cndmask_b32_e64 v99, 0, 1.0, s6
	v_cmp_lt_f32_e64 s6, v98, v90
	v_cndmask_b32_e64 v97, v97, 1.0, vcc_lo
	s_delay_alu instid0(VALU_DEP_2) | instskip(NEXT) | instid1(VALU_DEP_1)
	s_and_b32 s6, s5, s6
	v_mul_f32_e32 v97, v99, v97
	v_sub_f32_e32 v99, v73, v38
	s_delay_alu instid0(VALU_DEP_2) | instskip(NEXT) | instid1(VALU_DEP_1)
	v_mul_f32_e32 v97, v95, v97
	v_cndmask_b32_e64 v97, v97, -|v97|, s22
	s_delay_alu instid0(VALU_DEP_1) | instskip(SKIP_2) | instid1(VALU_DEP_2)
	v_fmac_f32_e32 v9, 0x42340000, v97
	v_fma_f32 v97, -v94, v98, 1.0
	v_cndmask_b32_e64 v98, 0, 1.0, s6
	v_cndmask_b32_e64 v97, v97, 1.0, vcc_lo
	s_delay_alu instid0(VALU_DEP_2) | instskip(NEXT) | instid1(VALU_DEP_1)
	v_mul_f32_e32 v98, v39, v98
	v_dual_fmac_f32 v9, v97, v98 :: v_dual_sub_f32 v98, v72, v37
	s_delay_alu instid0(VALU_DEP_1) | instskip(NEXT) | instid1(VALU_DEP_1)
	v_dual_sub_f32 v97, v71, v36 :: v_dual_mul_f32 v98, v98, v98
	v_fmac_f32_e32 v98, v97, v97
	s_delay_alu instid0(VALU_DEP_1) | instskip(NEXT) | instid1(VALU_DEP_1)
	v_fmac_f32_e32 v98, v99, v99
	v_cmp_gt_f32_e32 vcc_lo, 0xf800000, v98
	v_mul_f32_e32 v97, 0x4f800000, v98
	s_delay_alu instid0(VALU_DEP_1) | instskip(NEXT) | instid1(VALU_DEP_1)
	v_cndmask_b32_e32 v97, v98, v97, vcc_lo
	v_sqrt_f32_e32 v98, v97
	s_waitcnt_depctr 0xfff
	v_add_nc_u32_e32 v99, -1, v98
	s_delay_alu instid0(VALU_DEP_1) | instskip(NEXT) | instid1(VALU_DEP_1)
	v_fma_f32 v100, -v99, v98, v97
	v_cmp_ge_f32_e64 s6, 0, v100
	v_add_nc_u32_e32 v100, 1, v98
	s_delay_alu instid0(VALU_DEP_2) | instskip(NEXT) | instid1(VALU_DEP_2)
	v_cndmask_b32_e64 v99, v98, v99, s6
	v_fma_f32 v98, -v100, v98, v97
	s_delay_alu instid0(VALU_DEP_1) | instskip(NEXT) | instid1(VALU_DEP_1)
	v_cmp_lt_f32_e64 s6, 0, v98
	v_cndmask_b32_e64 v98, v99, v100, s6
	s_delay_alu instid0(VALU_DEP_1) | instskip(NEXT) | instid1(VALU_DEP_1)
	v_mul_f32_e32 v99, 0x37800000, v98
	v_cndmask_b32_e32 v98, v98, v99, vcc_lo
	v_cmp_class_f32_e64 vcc_lo, v97, 0x260
	s_delay_alu instid0(VALU_DEP_2) | instskip(NEXT) | instid1(VALU_DEP_1)
	v_cndmask_b32_e32 v97, v98, v97, vcc_lo
	v_sub_f32_e32 v98, v97, v96
	v_fma_f32 v97, -v93, v97, 1.0
	s_delay_alu instid0(VALU_DEP_2) | instskip(SKIP_2) | instid1(VALU_DEP_1)
	v_cmp_gt_f32_e32 vcc_lo, 0, v98
	v_cmp_lt_f32_e64 s6, v98, v91
	v_cndmask_b32_e64 v99, 0, 0x42980000, vcc_lo
	v_fmac_f32_e32 v10, v97, v99
	v_fma_f32 v97, -v92, v98, 1.0
	s_delay_alu instid0(VALU_DEP_4) | instskip(SKIP_1) | instid1(VALU_DEP_3)
	v_cndmask_b32_e64 v99, 0, 1.0, s6
	v_cmp_lt_f32_e64 s6, v98, v90
	v_cndmask_b32_e64 v97, v97, 1.0, vcc_lo
	s_delay_alu instid0(VALU_DEP_2) | instskip(NEXT) | instid1(VALU_DEP_1)
	s_and_b32 s6, s5, s6
	v_mul_f32_e32 v97, v99, v97
	v_sub_f32_e32 v99, v76, v38
	s_delay_alu instid0(VALU_DEP_2) | instskip(NEXT) | instid1(VALU_DEP_1)
	v_mul_f32_e32 v97, v95, v97
	v_cndmask_b32_e64 v97, v97, -|v97|, s22
	s_delay_alu instid0(VALU_DEP_1) | instskip(SKIP_2) | instid1(VALU_DEP_2)
	v_fmac_f32_e32 v10, 0x42340000, v97
	v_fma_f32 v97, -v94, v98, 1.0
	v_cndmask_b32_e64 v98, 0, 1.0, s6
	v_cndmask_b32_e64 v97, v97, 1.0, vcc_lo
	s_delay_alu instid0(VALU_DEP_2) | instskip(NEXT) | instid1(VALU_DEP_1)
	v_mul_f32_e32 v98, v39, v98
	v_fmac_f32_e32 v10, v97, v98
	v_dual_sub_f32 v98, v75, v37 :: v_dual_sub_f32 v97, v74, v36
	s_delay_alu instid0(VALU_DEP_1) | instskip(NEXT) | instid1(VALU_DEP_1)
	v_mul_f32_e32 v98, v98, v98
	v_fmac_f32_e32 v98, v97, v97
	s_delay_alu instid0(VALU_DEP_1) | instskip(NEXT) | instid1(VALU_DEP_1)
	v_fmac_f32_e32 v98, v99, v99
	v_cmp_gt_f32_e32 vcc_lo, 0xf800000, v98
	v_mul_f32_e32 v97, 0x4f800000, v98
	s_delay_alu instid0(VALU_DEP_1) | instskip(NEXT) | instid1(VALU_DEP_1)
	v_cndmask_b32_e32 v97, v98, v97, vcc_lo
	v_sqrt_f32_e32 v98, v97
	s_waitcnt_depctr 0xfff
	v_add_nc_u32_e32 v99, -1, v98
	s_delay_alu instid0(VALU_DEP_1) | instskip(NEXT) | instid1(VALU_DEP_1)
	v_fma_f32 v100, -v99, v98, v97
	v_cmp_ge_f32_e64 s6, 0, v100
	v_add_nc_u32_e32 v100, 1, v98
	s_delay_alu instid0(VALU_DEP_2) | instskip(NEXT) | instid1(VALU_DEP_2)
	v_cndmask_b32_e64 v99, v98, v99, s6
	v_fma_f32 v98, -v100, v98, v97
	s_delay_alu instid0(VALU_DEP_1) | instskip(NEXT) | instid1(VALU_DEP_1)
	v_cmp_lt_f32_e64 s6, 0, v98
	v_cndmask_b32_e64 v98, v99, v100, s6
	s_delay_alu instid0(VALU_DEP_1) | instskip(NEXT) | instid1(VALU_DEP_1)
	v_mul_f32_e32 v99, 0x37800000, v98
	v_cndmask_b32_e32 v98, v98, v99, vcc_lo
	v_cmp_class_f32_e64 vcc_lo, v97, 0x260
	s_delay_alu instid0(VALU_DEP_2) | instskip(NEXT) | instid1(VALU_DEP_1)
	v_cndmask_b32_e32 v97, v98, v97, vcc_lo
	v_sub_f32_e32 v98, v97, v96
	v_fma_f32 v97, -v93, v97, 1.0
	s_delay_alu instid0(VALU_DEP_2) | instskip(SKIP_2) | instid1(VALU_DEP_1)
	v_cmp_gt_f32_e32 vcc_lo, 0, v98
	v_cmp_lt_f32_e64 s6, v98, v91
	v_cndmask_b32_e64 v99, 0, 0x42980000, vcc_lo
	v_fmac_f32_e32 v11, v97, v99
	v_fma_f32 v97, -v92, v98, 1.0
	s_delay_alu instid0(VALU_DEP_4) | instskip(SKIP_1) | instid1(VALU_DEP_3)
	v_cndmask_b32_e64 v99, 0, 1.0, s6
	v_cmp_lt_f32_e64 s6, v98, v90
	v_cndmask_b32_e64 v97, v97, 1.0, vcc_lo
	s_delay_alu instid0(VALU_DEP_2) | instskip(NEXT) | instid1(VALU_DEP_1)
	s_and_b32 s6, s5, s6
	v_mul_f32_e32 v97, v99, v97
	v_sub_f32_e32 v99, v79, v38
	s_delay_alu instid0(VALU_DEP_2) | instskip(NEXT) | instid1(VALU_DEP_1)
	v_mul_f32_e32 v97, v95, v97
	v_cndmask_b32_e64 v97, v97, -|v97|, s22
	s_delay_alu instid0(VALU_DEP_1) | instskip(SKIP_2) | instid1(VALU_DEP_2)
	v_fmac_f32_e32 v11, 0x42340000, v97
	v_fma_f32 v97, -v94, v98, 1.0
	v_cndmask_b32_e64 v98, 0, 1.0, s6
	v_cndmask_b32_e64 v97, v97, 1.0, vcc_lo
	s_delay_alu instid0(VALU_DEP_2) | instskip(NEXT) | instid1(VALU_DEP_1)
	v_mul_f32_e32 v98, v39, v98
	v_dual_fmac_f32 v11, v97, v98 :: v_dual_sub_f32 v98, v78, v37
	s_delay_alu instid0(VALU_DEP_1) | instskip(NEXT) | instid1(VALU_DEP_1)
	v_dual_sub_f32 v97, v77, v36 :: v_dual_mul_f32 v98, v98, v98
	v_fmac_f32_e32 v98, v97, v97
	s_delay_alu instid0(VALU_DEP_1) | instskip(NEXT) | instid1(VALU_DEP_1)
	v_fmac_f32_e32 v98, v99, v99
	v_cmp_gt_f32_e32 vcc_lo, 0xf800000, v98
	v_mul_f32_e32 v97, 0x4f800000, v98
	s_delay_alu instid0(VALU_DEP_1) | instskip(NEXT) | instid1(VALU_DEP_1)
	v_cndmask_b32_e32 v97, v98, v97, vcc_lo
	v_sqrt_f32_e32 v98, v97
	s_waitcnt_depctr 0xfff
	v_add_nc_u32_e32 v99, -1, v98
	s_delay_alu instid0(VALU_DEP_1) | instskip(NEXT) | instid1(VALU_DEP_1)
	v_fma_f32 v100, -v99, v98, v97
	v_cmp_ge_f32_e64 s6, 0, v100
	v_add_nc_u32_e32 v100, 1, v98
	s_delay_alu instid0(VALU_DEP_2) | instskip(NEXT) | instid1(VALU_DEP_2)
	v_cndmask_b32_e64 v99, v98, v99, s6
	v_fma_f32 v98, -v100, v98, v97
	s_delay_alu instid0(VALU_DEP_1) | instskip(NEXT) | instid1(VALU_DEP_1)
	v_cmp_lt_f32_e64 s6, 0, v98
	v_cndmask_b32_e64 v98, v99, v100, s6
	s_delay_alu instid0(VALU_DEP_1) | instskip(NEXT) | instid1(VALU_DEP_1)
	v_mul_f32_e32 v99, 0x37800000, v98
	v_cndmask_b32_e32 v98, v98, v99, vcc_lo
	v_cmp_class_f32_e64 vcc_lo, v97, 0x260
	s_delay_alu instid0(VALU_DEP_2) | instskip(NEXT) | instid1(VALU_DEP_1)
	v_cndmask_b32_e32 v97, v98, v97, vcc_lo
	v_sub_f32_e32 v98, v97, v96
	v_fma_f32 v97, -v93, v97, 1.0
	s_delay_alu instid0(VALU_DEP_2) | instskip(SKIP_2) | instid1(VALU_DEP_1)
	v_cmp_gt_f32_e32 vcc_lo, 0, v98
	v_cmp_lt_f32_e64 s6, v98, v91
	v_cndmask_b32_e64 v99, 0, 0x42980000, vcc_lo
	v_fmac_f32_e32 v12, v97, v99
	v_fma_f32 v97, -v92, v98, 1.0
	s_delay_alu instid0(VALU_DEP_4) | instskip(SKIP_1) | instid1(VALU_DEP_3)
	v_cndmask_b32_e64 v99, 0, 1.0, s6
	v_cmp_lt_f32_e64 s6, v98, v90
	v_cndmask_b32_e64 v97, v97, 1.0, vcc_lo
	s_delay_alu instid0(VALU_DEP_2) | instskip(NEXT) | instid1(VALU_DEP_1)
	s_and_b32 s6, s5, s6
	v_mul_f32_e32 v97, v99, v97
	v_sub_f32_e32 v99, v82, v38
	s_delay_alu instid0(VALU_DEP_2) | instskip(NEXT) | instid1(VALU_DEP_1)
	v_mul_f32_e32 v97, v95, v97
	v_cndmask_b32_e64 v97, v97, -|v97|, s22
	s_delay_alu instid0(VALU_DEP_1) | instskip(SKIP_2) | instid1(VALU_DEP_2)
	v_fmac_f32_e32 v12, 0x42340000, v97
	v_fma_f32 v97, -v94, v98, 1.0
	v_cndmask_b32_e64 v98, 0, 1.0, s6
	v_cndmask_b32_e64 v97, v97, 1.0, vcc_lo
	s_delay_alu instid0(VALU_DEP_2) | instskip(NEXT) | instid1(VALU_DEP_1)
	v_mul_f32_e32 v98, v39, v98
	v_dual_fmac_f32 v12, v97, v98 :: v_dual_sub_f32 v97, v80, v36
	v_sub_f32_e32 v98, v81, v37
	s_delay_alu instid0(VALU_DEP_1) | instskip(NEXT) | instid1(VALU_DEP_1)
	v_mul_f32_e32 v98, v98, v98
	v_fmac_f32_e32 v98, v97, v97
	s_delay_alu instid0(VALU_DEP_1) | instskip(NEXT) | instid1(VALU_DEP_1)
	v_fmac_f32_e32 v98, v99, v99
	v_cmp_gt_f32_e32 vcc_lo, 0xf800000, v98
	v_mul_f32_e32 v97, 0x4f800000, v98
	s_delay_alu instid0(VALU_DEP_1) | instskip(NEXT) | instid1(VALU_DEP_1)
	v_cndmask_b32_e32 v97, v98, v97, vcc_lo
	v_sqrt_f32_e32 v98, v97
	s_waitcnt_depctr 0xfff
	v_add_nc_u32_e32 v99, -1, v98
	s_delay_alu instid0(VALU_DEP_1) | instskip(NEXT) | instid1(VALU_DEP_1)
	v_fma_f32 v100, -v99, v98, v97
	v_cmp_ge_f32_e64 s6, 0, v100
	v_add_nc_u32_e32 v100, 1, v98
	s_delay_alu instid0(VALU_DEP_2) | instskip(NEXT) | instid1(VALU_DEP_2)
	v_cndmask_b32_e64 v99, v98, v99, s6
	v_fma_f32 v98, -v100, v98, v97
	s_delay_alu instid0(VALU_DEP_1) | instskip(NEXT) | instid1(VALU_DEP_1)
	v_cmp_lt_f32_e64 s6, 0, v98
	v_cndmask_b32_e64 v98, v99, v100, s6
	s_delay_alu instid0(VALU_DEP_1) | instskip(NEXT) | instid1(VALU_DEP_1)
	v_mul_f32_e32 v99, 0x37800000, v98
	v_cndmask_b32_e32 v98, v98, v99, vcc_lo
	v_cmp_class_f32_e64 vcc_lo, v97, 0x260
	s_delay_alu instid0(VALU_DEP_2) | instskip(NEXT) | instid1(VALU_DEP_1)
	v_cndmask_b32_e32 v97, v98, v97, vcc_lo
	v_sub_f32_e32 v98, v97, v96
	v_fma_f32 v97, -v93, v97, 1.0
	s_delay_alu instid0(VALU_DEP_2) | instskip(SKIP_2) | instid1(VALU_DEP_1)
	v_cmp_gt_f32_e32 vcc_lo, 0, v98
	v_cmp_lt_f32_e64 s6, v98, v91
	v_cndmask_b32_e64 v99, 0, 0x42980000, vcc_lo
	v_fmac_f32_e32 v13, v97, v99
	v_fma_f32 v97, -v92, v98, 1.0
	s_delay_alu instid0(VALU_DEP_4) | instskip(SKIP_1) | instid1(VALU_DEP_3)
	v_cndmask_b32_e64 v99, 0, 1.0, s6
	v_cmp_lt_f32_e64 s6, v98, v90
	v_cndmask_b32_e64 v97, v97, 1.0, vcc_lo
	s_delay_alu instid0(VALU_DEP_2) | instskip(NEXT) | instid1(VALU_DEP_1)
	s_and_b32 s6, s5, s6
	v_mul_f32_e32 v97, v99, v97
	v_sub_f32_e32 v99, v85, v38
	s_delay_alu instid0(VALU_DEP_2) | instskip(NEXT) | instid1(VALU_DEP_1)
	v_mul_f32_e32 v97, v95, v97
	v_cndmask_b32_e64 v97, v97, -|v97|, s22
	s_delay_alu instid0(VALU_DEP_1) | instskip(SKIP_2) | instid1(VALU_DEP_2)
	v_fmac_f32_e32 v13, 0x42340000, v97
	v_fma_f32 v97, -v94, v98, 1.0
	v_cndmask_b32_e64 v98, 0, 1.0, s6
	v_cndmask_b32_e64 v97, v97, 1.0, vcc_lo
	s_delay_alu instid0(VALU_DEP_2) | instskip(NEXT) | instid1(VALU_DEP_1)
	v_mul_f32_e32 v98, v39, v98
	v_dual_fmac_f32 v13, v97, v98 :: v_dual_sub_f32 v98, v84, v37
	v_sub_f32_e32 v97, v83, v36
	s_delay_alu instid0(VALU_DEP_2) | instskip(NEXT) | instid1(VALU_DEP_1)
	v_dual_sub_f32 v37, v87, v37 :: v_dual_mul_f32 v98, v98, v98
	v_mul_f32_e32 v37, v37, v37
	s_delay_alu instid0(VALU_DEP_2) | instskip(NEXT) | instid1(VALU_DEP_1)
	v_fmac_f32_e32 v98, v97, v97
	v_fmac_f32_e32 v98, v99, v99
	s_delay_alu instid0(VALU_DEP_1) | instskip(SKIP_1) | instid1(VALU_DEP_1)
	v_cmp_gt_f32_e32 vcc_lo, 0xf800000, v98
	v_mul_f32_e32 v97, 0x4f800000, v98
	v_cndmask_b32_e32 v97, v98, v97, vcc_lo
	s_delay_alu instid0(VALU_DEP_1) | instskip(SKIP_2) | instid1(VALU_DEP_1)
	v_sqrt_f32_e32 v98, v97
	s_waitcnt_depctr 0xfff
	v_add_nc_u32_e32 v99, -1, v98
	v_fma_f32 v100, -v99, v98, v97
	s_delay_alu instid0(VALU_DEP_1) | instskip(SKIP_1) | instid1(VALU_DEP_2)
	v_cmp_ge_f32_e64 s6, 0, v100
	v_add_nc_u32_e32 v100, 1, v98
	v_cndmask_b32_e64 v99, v98, v99, s6
	s_delay_alu instid0(VALU_DEP_2) | instskip(NEXT) | instid1(VALU_DEP_1)
	v_fma_f32 v98, -v100, v98, v97
	v_cmp_lt_f32_e64 s6, 0, v98
	s_delay_alu instid0(VALU_DEP_1) | instskip(NEXT) | instid1(VALU_DEP_1)
	v_cndmask_b32_e64 v98, v99, v100, s6
	v_mul_f32_e32 v99, 0x37800000, v98
	s_delay_alu instid0(VALU_DEP_1) | instskip(SKIP_1) | instid1(VALU_DEP_2)
	v_cndmask_b32_e32 v98, v98, v99, vcc_lo
	v_cmp_class_f32_e64 vcc_lo, v97, 0x260
	v_cndmask_b32_e32 v97, v98, v97, vcc_lo
	s_delay_alu instid0(VALU_DEP_1) | instskip(SKIP_1) | instid1(VALU_DEP_2)
	v_sub_f32_e32 v98, v97, v96
	v_fma_f32 v97, -v93, v97, 1.0
	v_cmp_gt_f32_e32 vcc_lo, 0, v98
	v_cmp_lt_f32_e64 s6, v98, v91
	v_cndmask_b32_e64 v99, 0, 0x42980000, vcc_lo
	s_delay_alu instid0(VALU_DEP_1) | instskip(SKIP_1) | instid1(VALU_DEP_4)
	v_fmac_f32_e32 v14, v97, v99
	v_fma_f32 v97, -v92, v98, 1.0
	v_cndmask_b32_e64 v99, 0, 1.0, s6
	v_cmp_lt_f32_e64 s6, v98, v90
	s_delay_alu instid0(VALU_DEP_3) | instskip(NEXT) | instid1(VALU_DEP_2)
	v_cndmask_b32_e64 v97, v97, 1.0, vcc_lo
	s_and_b32 s6, s5, s6
	s_delay_alu instid0(VALU_DEP_1) | instskip(NEXT) | instid1(VALU_DEP_1)
	v_mul_f32_e32 v97, v99, v97
	v_mul_f32_e32 v97, v95, v97
	s_delay_alu instid0(VALU_DEP_1) | instskip(NEXT) | instid1(VALU_DEP_1)
	v_cndmask_b32_e64 v97, v97, -|v97|, s22
	v_fmac_f32_e32 v14, 0x42340000, v97
	v_fma_f32 v97, -v94, v98, 1.0
	v_cndmask_b32_e64 v98, 0, 1.0, s6
	s_delay_alu instid0(VALU_DEP_2) | instskip(NEXT) | instid1(VALU_DEP_2)
	v_cndmask_b32_e64 v97, v97, 1.0, vcc_lo
	v_mul_f32_e32 v98, v39, v98
	s_delay_alu instid0(VALU_DEP_1) | instskip(NEXT) | instid1(VALU_DEP_1)
	v_dual_fmac_f32 v14, v97, v98 :: v_dual_sub_f32 v97, v86, v36
	v_dual_sub_f32 v36, v88, v38 :: v_dual_fmac_f32 v37, v97, v97
	s_delay_alu instid0(VALU_DEP_1) | instskip(NEXT) | instid1(VALU_DEP_1)
	v_fmac_f32_e32 v37, v36, v36
	v_cmp_gt_f32_e32 vcc_lo, 0xf800000, v37
	v_mul_f32_e32 v36, 0x4f800000, v37
	s_delay_alu instid0(VALU_DEP_1) | instskip(NEXT) | instid1(VALU_DEP_1)
	v_cndmask_b32_e32 v36, v37, v36, vcc_lo
	v_sqrt_f32_e32 v37, v36
	s_waitcnt_depctr 0xfff
	v_add_nc_u32_e32 v38, -1, v37
	s_delay_alu instid0(VALU_DEP_1) | instskip(NEXT) | instid1(VALU_DEP_1)
	v_fma_f32 v97, -v38, v37, v36
	v_cmp_ge_f32_e64 s6, 0, v97
	v_add_nc_u32_e32 v97, 1, v37
	s_delay_alu instid0(VALU_DEP_2) | instskip(NEXT) | instid1(VALU_DEP_2)
	v_cndmask_b32_e64 v38, v37, v38, s6
	v_fma_f32 v37, -v97, v37, v36
	s_delay_alu instid0(VALU_DEP_1) | instskip(NEXT) | instid1(VALU_DEP_1)
	v_cmp_lt_f32_e64 s6, 0, v37
	v_cndmask_b32_e64 v37, v38, v97, s6
	s_delay_alu instid0(VALU_DEP_1) | instskip(NEXT) | instid1(VALU_DEP_1)
	v_mul_f32_e32 v38, 0x37800000, v37
	v_cndmask_b32_e32 v37, v37, v38, vcc_lo
	v_cmp_class_f32_e64 vcc_lo, v36, 0x260
	s_delay_alu instid0(VALU_DEP_2) | instskip(NEXT) | instid1(VALU_DEP_1)
	v_cndmask_b32_e32 v36, v37, v36, vcc_lo
	v_sub_f32_e32 v37, v36, v96
	v_fma_f32 v36, -v93, v36, 1.0
	s_delay_alu instid0(VALU_DEP_2) | instskip(SKIP_2) | instid1(VALU_DEP_1)
	v_cmp_gt_f32_e32 vcc_lo, 0, v37
	v_cmp_lt_f32_e64 s6, v37, v91
	v_cndmask_b32_e64 v38, 0, 0x42980000, vcc_lo
	v_fmac_f32_e32 v15, v36, v38
	v_fma_f32 v36, -v92, v37, 1.0
	s_delay_alu instid0(VALU_DEP_4) | instskip(SKIP_1) | instid1(VALU_DEP_3)
	v_cndmask_b32_e64 v38, 0, 1.0, s6
	v_cmp_lt_f32_e64 s6, v37, v90
	v_cndmask_b32_e64 v36, v36, 1.0, vcc_lo
	s_delay_alu instid0(VALU_DEP_2) | instskip(SKIP_2) | instid1(VALU_DEP_1)
	s_and_b32 s5, s5, s6
	s_add_u32 s18, s18, 16
	s_addc_u32 s19, s19, 0
	v_mul_f32_e32 v36, v38, v36
	s_add_i32 s21, s21, -1
	s_delay_alu instid0(SALU_CYCLE_1) | instskip(NEXT) | instid1(VALU_DEP_1)
	s_cmp_lg_u32 s21, 0
	v_mul_f32_e32 v36, v95, v36
	s_delay_alu instid0(VALU_DEP_1) | instskip(NEXT) | instid1(VALU_DEP_1)
	v_cndmask_b32_e64 v36, v36, -|v36|, s22
	v_fmac_f32_e32 v15, 0x42340000, v36
	v_fma_f32 v36, -v94, v37, 1.0
	v_cndmask_b32_e64 v37, 0, 1.0, s5
	s_delay_alu instid0(VALU_DEP_2) | instskip(NEXT) | instid1(VALU_DEP_2)
	v_cndmask_b32_e64 v36, v36, 1.0, vcc_lo
	v_mul_f32_e32 v37, v39, v37
	s_delay_alu instid0(VALU_DEP_1)
	v_fmac_f32_e32 v15, v36, v37
	s_cbranch_scc1 .LBB4_28
; %bb.29:                               ;   in Loop: Header=BB4_27 Depth=1
	s_add_i32 s16, s16, 1
	s_delay_alu instid0(SALU_CYCLE_1)
	s_cmp_lg_u32 s16, s20
	s_cbranch_scc1 .LBB4_27
; %bb.30:
	s_and_saveexec_b32 s0, s2
	s_cbranch_execz .LBB4_32
; %bb.31:
	scratch_load_b64 v[16:17], off, off offset:1536 ; 8-byte Folded Reload
	v_dual_mul_f32 v21, 0.5, v1 :: v_dual_mul_f32 v22, 0.5, v2
	v_mov_b32_e32 v24, 0
	v_mul_f32_e32 v20, 0.5, v0
	v_mul_f32_e32 v4, 0.5, v4
	;; [unrolled: 1-line block ×3, first 2 shown]
	v_dual_mul_f32 v10, 0.5, v10 :: v_dual_mul_f32 v9, 0.5, v9
	s_waitcnt vmcnt(0)
	v_mov_b32_e32 v23, v16
	s_delay_alu instid0(VALU_DEP_1) | instskip(SKIP_1) | instid1(VALU_DEP_1)
	v_lshlrev_b64 v[16:17], 2, v[23:24]
	v_add_nc_u32_e32 v23, s24, v23
	v_lshlrev_b64 v[0:1], 2, v[23:24]
	v_add_nc_u32_e32 v23, s24, v23
	s_delay_alu instid0(VALU_DEP_4) | instskip(SKIP_1) | instid1(VALU_DEP_3)
	v_add_co_u32 v16, vcc_lo, s12, v16
	v_add_co_ci_u32_e32 v17, vcc_lo, s13, v17, vcc_lo
	v_lshlrev_b64 v[18:19], 2, v[23:24]
	v_add_nc_u32_e32 v23, s24, v23
	v_add_co_u32 v0, vcc_lo, s12, v0
	v_add_co_ci_u32_e32 v1, vcc_lo, s13, v1, vcc_lo
	global_store_b32 v[16:17], v20, off
	v_lshlrev_b64 v[16:17], 2, v[23:24]
	v_add_nc_u32_e32 v23, s24, v23
	global_store_b32 v[0:1], v21, off
	v_add_co_u32 v0, vcc_lo, s12, v18
	v_mul_f32_e32 v20, 0.5, v3
	v_lshlrev_b64 v[2:3], 2, v[23:24]
	v_add_nc_u32_e32 v23, s24, v23
	v_add_co_ci_u32_e32 v1, vcc_lo, s13, v19, vcc_lo
	v_add_co_u32 v16, vcc_lo, s12, v16
	v_add_co_ci_u32_e32 v17, vcc_lo, s13, v17, vcc_lo
	v_add_co_u32 v2, vcc_lo, s12, v2
	v_lshlrev_b64 v[18:19], 2, v[23:24]
	v_add_nc_u32_e32 v23, s24, v23
	v_add_co_ci_u32_e32 v3, vcc_lo, s13, v3, vcc_lo
	s_clause 0x2
	global_store_b32 v[0:1], v22, off
	global_store_b32 v[16:17], v20, off
	;; [unrolled: 1-line block ×3, first 2 shown]
	v_lshlrev_b64 v[0:1], 2, v[23:24]
	v_dual_mul_f32 v16, 0.5, v5 :: v_dual_add_nc_u32 v23, s24, v23
	v_add_co_u32 v2, vcc_lo, s12, v18
	v_add_co_ci_u32_e32 v3, vcc_lo, s13, v19, vcc_lo
	s_delay_alu instid0(VALU_DEP_3)
	v_lshlrev_b64 v[4:5], 2, v[23:24]
	v_add_nc_u32_e32 v23, s24, v23
	v_add_co_u32 v0, vcc_lo, s12, v0
	v_add_co_ci_u32_e32 v1, vcc_lo, s13, v1, vcc_lo
	v_dual_mul_f32 v17, 0.5, v6 :: v_dual_mul_f32 v18, 0.5, v7
	v_add_co_u32 v4, vcc_lo, s12, v4
	v_lshlrev_b64 v[6:7], 2, v[23:24]
	v_add_nc_u32_e32 v23, s24, v23
	v_add_co_ci_u32_e32 v5, vcc_lo, s13, v5, vcc_lo
	s_clause 0x2
	global_store_b32 v[2:3], v16, off
	global_store_b32 v[0:1], v17, off
	;; [unrolled: 1-line block ×3, first 2 shown]
	v_lshlrev_b64 v[0:1], 2, v[23:24]
	v_add_nc_u32_e32 v23, s24, v23
	v_add_co_u32 v2, vcc_lo, s12, v6
	v_add_co_ci_u32_e32 v3, vcc_lo, s13, v7, vcc_lo
	s_delay_alu instid0(VALU_DEP_3) | instskip(SKIP_3) | instid1(VALU_DEP_4)
	v_lshlrev_b64 v[4:5], 2, v[23:24]
	v_add_nc_u32_e32 v23, s24, v23
	v_add_co_u32 v0, vcc_lo, s12, v0
	v_add_co_ci_u32_e32 v1, vcc_lo, s13, v1, vcc_lo
	v_add_co_u32 v4, vcc_lo, s12, v4
	s_delay_alu instid0(VALU_DEP_4)
	v_lshlrev_b64 v[6:7], 2, v[23:24]
	v_add_nc_u32_e32 v23, s24, v23
	v_add_co_ci_u32_e32 v5, vcc_lo, s13, v5, vcc_lo
	s_clause 0x2
	global_store_b32 v[2:3], v8, off
	global_store_b32 v[0:1], v9, off
	;; [unrolled: 1-line block ×3, first 2 shown]
	v_lshlrev_b64 v[0:1], 2, v[23:24]
	v_add_nc_u32_e32 v23, s24, v23
	v_add_co_u32 v2, vcc_lo, s12, v6
	v_add_co_ci_u32_e32 v3, vcc_lo, s13, v7, vcc_lo
	s_delay_alu instid0(VALU_DEP_3) | instskip(SKIP_3) | instid1(VALU_DEP_3)
	v_lshlrev_b64 v[4:5], 2, v[23:24]
	v_add_nc_u32_e32 v23, s24, v23
	v_add_co_u32 v0, vcc_lo, s12, v0
	v_add_co_ci_u32_e32 v1, vcc_lo, s13, v1, vcc_lo
	v_lshlrev_b64 v[6:7], 2, v[23:24]
	v_add_nc_u32_e32 v23, s24, v23
	v_add_co_u32 v4, vcc_lo, s12, v4
	v_add_co_ci_u32_e32 v5, vcc_lo, s13, v5, vcc_lo
	s_delay_alu instid0(VALU_DEP_3)
	v_lshlrev_b64 v[8:9], 2, v[23:24]
	v_add_co_u32 v6, vcc_lo, s12, v6
	v_dual_mul_f32 v10, 0.5, v11 :: v_dual_mul_f32 v11, 0.5, v12
	v_add_co_ci_u32_e32 v7, vcc_lo, s13, v7, vcc_lo
	v_mul_f32_e32 v12, 0.5, v13
	v_add_co_u32 v8, vcc_lo, s12, v8
	v_dual_mul_f32 v13, 0.5, v14 :: v_dual_mul_f32 v14, 0.5, v15
	v_add_co_ci_u32_e32 v9, vcc_lo, s13, v9, vcc_lo
	s_clause 0x4
	global_store_b32 v[2:3], v10, off
	global_store_b32 v[0:1], v11, off
	;; [unrolled: 1-line block ×5, first 2 shown]
.LBB4_32:
	s_endpgm
	.section	.rodata,"a",@progbits
	.p2align	6, 0x0
	.amdhsa_kernel _ZL11fasten_mainILm16EEviiPK4AtomS2_PKfS4_S4_S4_S4_S4_PfPK8FFParamsi
		.amdhsa_group_segment_fixed_size 0
		.amdhsa_private_segment_fixed_size 1552
		.amdhsa_kernarg_size 352
		.amdhsa_user_sgpr_count 15
		.amdhsa_user_sgpr_dispatch_ptr 0
		.amdhsa_user_sgpr_queue_ptr 0
		.amdhsa_user_sgpr_kernarg_segment_ptr 1
		.amdhsa_user_sgpr_dispatch_id 0
		.amdhsa_user_sgpr_private_segment_size 0
		.amdhsa_wavefront_size32 1
		.amdhsa_uses_dynamic_stack 0
		.amdhsa_enable_private_segment 1
		.amdhsa_system_sgpr_workgroup_id_x 1
		.amdhsa_system_sgpr_workgroup_id_y 0
		.amdhsa_system_sgpr_workgroup_id_z 0
		.amdhsa_system_sgpr_workgroup_info 0
		.amdhsa_system_vgpr_workitem_id 0
		.amdhsa_next_free_vgpr 192
		.amdhsa_next_free_sgpr 32
		.amdhsa_reserve_vcc 1
		.amdhsa_float_round_mode_32 0
		.amdhsa_float_round_mode_16_64 0
		.amdhsa_float_denorm_mode_32 3
		.amdhsa_float_denorm_mode_16_64 3
		.amdhsa_dx10_clamp 1
		.amdhsa_ieee_mode 1
		.amdhsa_fp16_overflow 0
		.amdhsa_workgroup_processor_mode 1
		.amdhsa_memory_ordered 1
		.amdhsa_forward_progress 0
		.amdhsa_shared_vgpr_count 0
		.amdhsa_exception_fp_ieee_invalid_op 0
		.amdhsa_exception_fp_denorm_src 0
		.amdhsa_exception_fp_ieee_div_zero 0
		.amdhsa_exception_fp_ieee_overflow 0
		.amdhsa_exception_fp_ieee_underflow 0
		.amdhsa_exception_fp_ieee_inexact 0
		.amdhsa_exception_int_div_zero 0
	.end_amdhsa_kernel
	.section	.text._ZL11fasten_mainILm16EEviiPK4AtomS2_PKfS4_S4_S4_S4_S4_PfPK8FFParamsi,"axG",@progbits,_ZL11fasten_mainILm16EEviiPK4AtomS2_PKfS4_S4_S4_S4_S4_PfPK8FFParamsi,comdat
.Lfunc_end4:
	.size	_ZL11fasten_mainILm16EEviiPK4AtomS2_PKfS4_S4_S4_S4_S4_PfPK8FFParamsi, .Lfunc_end4-_ZL11fasten_mainILm16EEviiPK4AtomS2_PKfS4_S4_S4_S4_S4_PfPK8FFParamsi
                                        ; -- End function
	.section	.AMDGPU.csdata,"",@progbits
; Kernel info:
; codeLenInByte = 14636
; NumSgprs: 34
; NumVgprs: 192
; ScratchSize: 1552
; MemoryBound: 0
; FloatMode: 240
; IeeeMode: 1
; LDSByteSize: 0 bytes/workgroup (compile time only)
; SGPRBlocks: 4
; VGPRBlocks: 23
; NumSGPRsForWavesPerEU: 34
; NumVGPRsForWavesPerEU: 192
; Occupancy: 8
; WaveLimiterHint : 1
; COMPUTE_PGM_RSRC2:SCRATCH_EN: 1
; COMPUTE_PGM_RSRC2:USER_SGPR: 15
; COMPUTE_PGM_RSRC2:TRAP_HANDLER: 0
; COMPUTE_PGM_RSRC2:TGID_X_EN: 1
; COMPUTE_PGM_RSRC2:TGID_Y_EN: 0
; COMPUTE_PGM_RSRC2:TGID_Z_EN: 0
; COMPUTE_PGM_RSRC2:TIDIG_COMP_CNT: 0
	.section	.text._ZL11fasten_mainILm32EEviiPK4AtomS2_PKfS4_S4_S4_S4_S4_PfPK8FFParamsi,"axG",@progbits,_ZL11fasten_mainILm32EEviiPK4AtomS2_PKfS4_S4_S4_S4_S4_PfPK8FFParamsi,comdat
	.globl	_ZL11fasten_mainILm32EEviiPK4AtomS2_PKfS4_S4_S4_S4_S4_PfPK8FFParamsi ; -- Begin function _ZL11fasten_mainILm32EEviiPK4AtomS2_PKfS4_S4_S4_S4_S4_PfPK8FFParamsi
	.p2align	8
	.type	_ZL11fasten_mainILm32EEviiPK4AtomS2_PKfS4_S4_S4_S4_S4_PfPK8FFParamsi,@function
_ZL11fasten_mainILm32EEviiPK4AtomS2_PKfS4_S4_S4_S4_S4_PfPK8FFParamsi: ; @_ZL11fasten_mainILm32EEviiPK4AtomS2_PKfS4_S4_S4_S4_S4_PfPK8FFParamsi
; %bb.0:
	s_clause 0x1
	s_load_b32 s2, s[0:1], 0x6c
	s_load_b32 s3, s[0:1], 0x58
	v_mov_b32_e32 v4, 0
	s_mov_b32 s6, 0
	s_mov_b32 s25, 0x7fffff
	;; [unrolled: 1-line block ×4, first 2 shown]
	v_mov_b32_e32 v3, 0
	s_waitcnt lgkmcnt(0)
	s_and_b32 s7, s2, 0xffff
	s_sub_i32 s4, s3, 32
	s_mul_i32 s15, s15, s7
	s_lshl_b32 s24, s7, 2
	v_lshl_add_u32 v1, s15, 5, v0
	s_load_b512 s[8:23], s[0:1], 0x8
	s_delay_alu instid0(VALU_DEP_1) | instskip(SKIP_3) | instid1(VALU_DEP_1)
	v_cmp_gt_i32_e64 s2, s3, v1
	v_mov_b32_e32 v0, v1
	scratch_store_b64 off, v[0:1], off offset:2916 ; 8-byte Folded Spill
	v_cndmask_b32_e64 v0, s4, v1, s2
	v_ashrrev_i32_e32 v1, 31, v0
	s_delay_alu instid0(VALU_DEP_1)
	v_lshlrev_b64 v[0:1], 2, v[0:1]
	s_branch .LBB5_2
.LBB5_1:                                ;   in Loop: Header=BB5_2 Depth=1
	s_or_b32 exec_lo, exec_lo, s3
	v_add_co_u32 v21, vcc_lo, s18, v0
	v_add_co_ci_u32_e32 v22, vcc_lo, s19, v1, vcc_lo
	v_add_co_u32 v24, vcc_lo, s20, v0
	v_add_co_ci_u32_e32 v25, vcc_lo, s21, v1, vcc_lo
	;; [unrolled: 2-line block ×3, first 2 shown]
	global_load_b32 v21, v[21:22], off
	global_load_b32 v25, v[24:25], off
	;; [unrolled: 1-line block ×3, first 2 shown]
	v_dual_mul_f32 v31, v9, v9 :: v_dual_and_b32 v24, 1, v20
	v_dual_mul_f32 v33, v7, v7 :: v_dual_lshlrev_b32 v20, 30, v20
	v_dual_mul_f32 v22, v19, v19 :: v_dual_and_b32 v27, 1, v17
	v_mul_f32_e32 v28, v13, v13
	v_and_b32_e32 v34, 1, v8
	s_delay_alu instid0(VALU_DEP_4) | instskip(NEXT) | instid1(VALU_DEP_4)
	v_fmaak_f32 v46, s26, v33, 0x3c0881c4
	v_dual_fmaak_f32 v39, s27, v22, 0xbab64f3b :: v_dual_and_b32 v32, 1, v11
	v_mul_f32_e32 v35, v2, v2
	s_delay_alu instid0(VALU_DEP_3) | instskip(NEXT) | instid1(VALU_DEP_3)
	v_dual_fmaak_f32 v46, v33, v46, 0xbe2aaa9d :: v_dual_lshlrev_b32 v11, 30, v11
	v_dual_fmaak_f32 v39, v22, v39, 0x3d2aabf7 :: v_dual_and_b32 v30, 1, v14
	v_dual_fmaak_f32 v43, s27, v28, 0xbab64f3b :: v_dual_and_b32 v36, 1, v23
	s_delay_alu instid0(VALU_DEP_3) | instskip(SKIP_1) | instid1(VALU_DEP_3)
	v_dual_fmaak_f32 v47, s27, v33, 0xbab64f3b :: v_dual_mul_f32 v46, v33, v46
	v_fmaak_f32 v42, s26, v28, 0x3c0881c4
	v_fmaak_f32 v43, v28, v43, 0x3d2aabf7
	v_dual_mul_f32 v26, v15, v15 :: v_dual_lshlrev_b32 v17, 30, v17
	s_delay_alu instid0(VALU_DEP_4) | instskip(NEXT) | instid1(VALU_DEP_4)
	v_fmac_f32_e32 v7, v7, v46
	v_fmaak_f32 v42, v28, v42, 0xbe2aaa9d
	v_fmaak_f32 v49, s27, v35, 0xbab64f3b
	v_dual_fmaak_f32 v38, s26, v22, 0x3c0881c4 :: v_dual_lshlrev_b32 v23, 30, v23
	v_add_nc_u32_e64 v37, 0x80, s6
	s_delay_alu instid0(VALU_DEP_4) | instskip(SKIP_4) | instid1(VALU_DEP_4)
	v_mul_f32_e32 v42, v28, v42
	v_fmaak_f32 v44, s26, v31, 0x3c0881c4
	v_fmaak_f32 v47, v33, v47, 0x3d2aabf7
	v_dual_fmaak_f32 v43, v28, v43, 0xbf000004 :: v_dual_lshlrev_b32 v8, 30, v8
	v_fmaak_f32 v41, s27, v26, 0xbab64f3b
	v_dual_fmac_f32 v13, v13, v42 :: v_dual_fmaak_f32 v44, v31, v44, 0xbe2aaa9d
	v_and_b32_e32 v23, 0x80000000, v23
	v_fmaak_f32 v47, v33, v47, 0xbf000004
	v_fma_f32 v28, v28, v43, 1.0
	v_fmaak_f32 v38, v22, v38, 0xbe2aaa9d
	v_mul_f32_e32 v44, v31, v44
	v_fmaak_f32 v40, s26, v26, 0x3c0881c4
	scratch_store_b32 v4, v3, off
	v_dual_mul_f32 v38, v22, v38 :: v_dual_and_b32 v17, 0x80000000, v17
	v_fmaak_f32 v41, v26, v41, 0x3d2aabf7
	v_fmaak_f32 v39, v22, v39, 0xbf000004
	v_fmac_f32_e32 v9, v9, v44
	v_add_nc_u32_e32 v4, 4, v4
	v_fma_f32 v33, v33, v47, 1.0
	v_fmaak_f32 v40, v26, v40, 0xbe2aaa9d
	v_dual_fmaak_f32 v45, s27, v31, 0xbab64f3b :: v_dual_lshlrev_b32 v14, 30, v14
	v_dual_fmac_f32 v19, v19, v38 :: v_dual_and_b32 v20, 0x80000000, v20
	s_delay_alu instid0(VALU_DEP_3) | instskip(SKIP_3) | instid1(VALU_DEP_4)
	v_dual_mul_f32 v40, v26, v40 :: v_dual_and_b32 v11, 0x80000000, v11
	v_fmaak_f32 v41, v26, v41, 0xbf000004
	v_fma_f32 v22, v22, v39, 1.0
	v_cmp_eq_u32_e32 vcc_lo, 0, v24
	v_dual_fmac_f32 v15, v15, v40 :: v_dual_and_b32 v14, 0x80000000, v14
	v_and_b32_e32 v8, 0x80000000, v8
	v_fmaak_f32 v45, v31, v45, 0x3d2aabf7
	v_fma_f32 v26, v26, v41, 1.0
	v_cndmask_b32_e32 v19, v22, v19, vcc_lo
	v_cmp_eq_u32_e32 vcc_lo, 0, v27
	v_xor_b32_e32 v18, v18, v16
	v_fmaak_f32 v45, v31, v45, 0xbf000004
	v_xor_b32_e32 v6, v6, v5
	v_fmaak_f32 v48, s26, v35, 0x3c0881c4
	v_cndmask_b32_e64 v15, -v15, v26, vcc_lo
	v_cmp_eq_u32_e32 vcc_lo, 0, v30
	v_fma_f32 v31, v31, v45, 1.0
	v_xor3_b32 v18, v18, v20, v19
	v_cmp_class_f32_e64 s3, v5, 0x1f8
	v_cmp_class_f32_e64 s4, v16, 0x1f8
	v_cndmask_b32_e32 v13, v28, v13, vcc_lo
	v_cmp_eq_u32_e32 vcc_lo, 0, v32
	v_xor_b32_e32 v12, v12, v10
	v_xor_b32_e32 v15, v17, v15
	s_add_i32 s5, s6, 0x80
	s_add_i32 s6, s6, 48
	v_cndmask_b32_e64 v9, -v9, v31, vcc_lo
	v_cmp_eq_u32_e32 vcc_lo, 0, v34
	s_cmpk_lg_i32 s6, 0x600
	s_delay_alu instid0(VALU_DEP_2) | instskip(SKIP_3) | instid1(VALU_DEP_4)
	v_xor_b32_e32 v9, v11, v9
	v_add_nc_u32_e32 v11, 32, v37
	v_cndmask_b32_e32 v7, v33, v7, vcc_lo
	v_cmp_eq_u32_e32 vcc_lo, 0, v36
	v_cndmask_b32_e64 v9, 0x7fc00000, v9, s3
	s_delay_alu instid0(VALU_DEP_3) | instskip(SKIP_2) | instid1(VALU_DEP_3)
	v_xor3_b32 v5, v6, v8, v7
	v_cndmask_b32_e64 v6, 0x7fc00000, v18, s4
	v_fmaak_f32 v49, v35, v49, 0x3d2aabf7
	v_cndmask_b32_e64 v5, 0x7fc00000, v5, s3
	v_fmaak_f32 v48, v35, v48, 0xbe2aaa9d
	s_delay_alu instid0(VALU_DEP_3) | instskip(NEXT) | instid1(VALU_DEP_2)
	v_fmaak_f32 v49, v35, v49, 0xbf000004
	v_mul_f32_e32 v48, v35, v48
	s_delay_alu instid0(VALU_DEP_2) | instskip(NEXT) | instid1(VALU_DEP_2)
	v_fma_f32 v35, v35, v49, 1.0
	v_fmac_f32_e32 v2, v2, v48
	s_delay_alu instid0(VALU_DEP_1) | instskip(SKIP_3) | instid1(VALU_DEP_4)
	v_cndmask_b32_e64 v2, -v2, v35, vcc_lo
	v_cmp_class_f32_e64 vcc_lo, v10, 0x1f8
	v_xor3_b32 v10, v12, v14, v13
	v_mul_f32_e32 v14, v9, v6
	v_xor_b32_e32 v2, v23, v2
	v_cndmask_b32_e32 v7, 0x7fc00000, v15, vcc_lo
	s_delay_alu instid0(VALU_DEP_4) | instskip(SKIP_1) | instid1(VALU_DEP_4)
	v_cndmask_b32_e32 v8, 0x7fc00000, v10, vcc_lo
	v_add_co_u32 v0, vcc_lo, v0, s24
	v_cndmask_b32_e64 v2, 0x7fc00000, v2, s4
	s_delay_alu instid0(VALU_DEP_4) | instskip(NEXT) | instid1(VALU_DEP_4)
	v_mul_f32_e32 v28, v9, v7
	v_mul_f32_e32 v13, v9, v8
	;; [unrolled: 1-line block ×3, first 2 shown]
	v_add_co_ci_u32_e32 v1, vcc_lo, 0, v1, vcc_lo
	v_mul_f32_e32 v23, v9, v2
	s_delay_alu instid0(VALU_DEP_4)
	v_mul_f32_e32 v20, v13, v2
	v_mul_f32_e32 v15, v5, v2
	;; [unrolled: 1-line block ×3, first 2 shown]
	v_fma_f32 v19, v12, v2, -v14
	v_add_nc_u32_e32 v10, 16, v37
	v_fmac_f32_e32 v20, v5, v6
	v_mul_f32_e32 v22, v7, v6
	v_fmac_f32_e32 v23, v12, v6
	v_fma_f32 v24, v13, v6, -v15
	v_xor_b32_e32 v26, 0x80000000, v8
	v_mul_f32_e32 v27, v5, v7
	s_waitcnt vmcnt(2)
	scratch_store_b128 off, v[18:21], s5
	s_waitcnt vmcnt(1)
	scratch_store_b128 v10, v[22:25], off
	s_waitcnt vmcnt(0)
	scratch_store_b128 v11, v[26:29], off
	s_cbranch_scc0 .LBB5_26
.LBB5_2:                                ; =>This Inner Loop Header: Depth=1
	s_waitcnt lgkmcnt(0)
	s_delay_alu instid0(VALU_DEP_1) | instskip(NEXT) | instid1(VALU_DEP_2)
	v_add_co_u32 v5, vcc_lo, s12, v0
	v_add_co_ci_u32_e32 v6, vcc_lo, s13, v1, vcc_lo
                                        ; implicit-def: $vgpr8
                                        ; implicit-def: $vgpr7
	global_load_b32 v5, v[5:6], off
	s_waitcnt vmcnt(0)
	v_and_b32_e32 v6, 0x7fffffff, v5
	v_cmp_ngt_f32_e64 s28, 0x48000000, |v5|
	s_delay_alu instid0(VALU_DEP_2) | instskip(SKIP_1) | instid1(VALU_DEP_2)
	v_lshrrev_b32_e32 v2, 23, v6
	v_and_or_b32 v10, v6, s25, 0x800000
	v_add_nc_u32_e32 v12, 0xffffff88, v2
	s_delay_alu instid0(VALU_DEP_4) | instskip(NEXT) | instid1(SALU_CYCLE_1)
	s_and_saveexec_b32 s3, s28
	s_xor_b32 s29, exec_lo, s3
	s_cbranch_execz .LBB5_4
; %bb.3:                                ;   in Loop: Header=BB5_2 Depth=1
	v_mad_u64_u32 v[7:8], null, 0xfe5163ab, v10, 0
	v_cmp_lt_u32_e32 vcc_lo, 63, v12
	s_delay_alu instid0(VALU_DEP_2) | instskip(NEXT) | instid1(VALU_DEP_1)
	v_mov_b32_e32 v2, v8
	v_mad_u64_u32 v[8:9], null, 0x3c439041, v10, v[2:3]
	s_delay_alu instid0(VALU_DEP_1) | instskip(SKIP_1) | instid1(VALU_DEP_1)
	v_mov_b32_e32 v2, v9
	v_cndmask_b32_e64 v9, 0, 0xffffffc0, vcc_lo
	v_add_nc_u32_e32 v9, v9, v12
	s_delay_alu instid0(VALU_DEP_1) | instskip(NEXT) | instid1(VALU_DEP_1)
	v_cmp_lt_u32_e64 s3, 31, v9
	v_cndmask_b32_e64 v11, 0, 0xffffffe0, s3
	s_delay_alu instid0(VALU_DEP_1) | instskip(SKIP_1) | instid1(VALU_DEP_2)
	v_add_nc_u32_e32 v9, v11, v9
	v_mad_u64_u32 v[13:14], null, 0xdb629599, v10, v[2:3]
	v_cmp_lt_u32_e64 s4, 31, v9
	s_delay_alu instid0(VALU_DEP_2) | instskip(NEXT) | instid1(VALU_DEP_1)
	v_dual_mov_b32 v2, v14 :: v_dual_cndmask_b32 v7, v13, v7
	v_mad_u64_u32 v[14:15], null, 0xf534ddc0, v10, v[2:3]
	s_delay_alu instid0(VALU_DEP_1) | instskip(NEXT) | instid1(VALU_DEP_2)
	v_mov_b32_e32 v2, v15
	v_cndmask_b32_e32 v8, v14, v8, vcc_lo
	s_delay_alu instid0(VALU_DEP_2) | instskip(NEXT) | instid1(VALU_DEP_2)
	v_mad_u64_u32 v[15:16], null, 0xfc2757d1, v10, v[2:3]
	v_cndmask_b32_e64 v7, v8, v7, s3
	s_delay_alu instid0(VALU_DEP_2) | instskip(NEXT) | instid1(VALU_DEP_1)
	v_mov_b32_e32 v2, v16
	v_mad_u64_u32 v[16:17], null, 0x4e441529, v10, v[2:3]
	s_delay_alu instid0(VALU_DEP_1) | instskip(NEXT) | instid1(VALU_DEP_1)
	v_dual_mov_b32 v2, v17 :: v_dual_cndmask_b32 v11, v16, v14
	v_mad_u64_u32 v[17:18], null, 0xa2f9836e, v10, v[2:3]
	v_cndmask_b32_e64 v2, 0, 0xffffffe0, s4
	s_delay_alu instid0(VALU_DEP_1) | instskip(NEXT) | instid1(VALU_DEP_3)
	v_dual_cndmask_b32 v17, v17, v15 :: v_dual_add_nc_u32 v2, v2, v9
	v_dual_cndmask_b32 v16, v18, v16 :: v_dual_cndmask_b32 v15, v15, v13
	s_delay_alu instid0(VALU_DEP_2) | instskip(NEXT) | instid1(VALU_DEP_3)
	v_cmp_eq_u32_e64 s5, 0, v2
	v_cndmask_b32_e64 v9, v17, v11, s3
	s_delay_alu instid0(VALU_DEP_3) | instskip(NEXT) | instid1(VALU_DEP_4)
	v_cndmask_b32_e64 v14, v16, v17, s3
	v_cndmask_b32_e64 v11, v11, v15, s3
	v_sub_nc_u32_e32 v16, 32, v2
	v_cndmask_b32_e64 v15, v15, v8, s3
	s_delay_alu instid0(VALU_DEP_4) | instskip(NEXT) | instid1(VALU_DEP_4)
	v_cndmask_b32_e64 v14, v14, v9, s4
	v_cndmask_b32_e64 v9, v9, v11, s4
	s_delay_alu instid0(VALU_DEP_3) | instskip(SKIP_1) | instid1(VALU_DEP_3)
	v_cndmask_b32_e64 v11, v11, v15, s4
	v_cndmask_b32_e64 v7, v15, v7, s4
	v_alignbit_b32 v17, v14, v9, v16
	s_delay_alu instid0(VALU_DEP_3) | instskip(NEXT) | instid1(VALU_DEP_3)
	v_alignbit_b32 v18, v9, v11, v16
	v_alignbit_b32 v16, v11, v7, v16
	s_delay_alu instid0(VALU_DEP_3) | instskip(NEXT) | instid1(VALU_DEP_3)
	v_cndmask_b32_e64 v2, v17, v14, s5
	v_cndmask_b32_e64 v9, v18, v9, s5
	s_delay_alu instid0(VALU_DEP_3) | instskip(NEXT) | instid1(VALU_DEP_3)
	v_cndmask_b32_e64 v11, v16, v11, s5
	v_bfe_u32 v13, v2, 29, 1
	s_delay_alu instid0(VALU_DEP_3) | instskip(NEXT) | instid1(VALU_DEP_3)
	v_alignbit_b32 v8, v2, v9, 30
	v_alignbit_b32 v9, v9, v11, 30
	;; [unrolled: 1-line block ×3, first 2 shown]
	s_delay_alu instid0(VALU_DEP_4) | instskip(NEXT) | instid1(VALU_DEP_1)
	v_sub_nc_u32_e32 v14, 0, v13
	v_xor_b32_e32 v15, v8, v14
	v_cmp_ne_u32_e32 vcc_lo, v8, v14
	v_xor_b32_e32 v9, v9, v14
	v_xor_b32_e32 v7, v7, v14
	s_delay_alu instid0(VALU_DEP_4) | instskip(NEXT) | instid1(VALU_DEP_1)
	v_clz_i32_u32_e32 v17, v15
	v_add_nc_u32_e32 v16, 1, v17
	s_delay_alu instid0(VALU_DEP_1) | instskip(NEXT) | instid1(VALU_DEP_1)
	v_cndmask_b32_e32 v8, 33, v16, vcc_lo
	v_sub_nc_u32_e32 v11, 32, v8
	s_delay_alu instid0(VALU_DEP_1) | instskip(SKIP_3) | instid1(VALU_DEP_3)
	v_alignbit_b32 v14, v15, v9, v11
	v_alignbit_b32 v7, v9, v7, v11
	v_lshrrev_b32_e32 v9, 29, v2
	v_lshrrev_b32_e32 v2, 30, v2
	v_alignbit_b32 v11, v14, v7, 9
	s_delay_alu instid0(VALU_DEP_3) | instskip(SKIP_1) | instid1(VALU_DEP_3)
	v_lshlrev_b32_e32 v9, 31, v9
	v_alignbit_b32 v14, v8, v14, 9
	v_clz_i32_u32_e32 v15, v11
	s_delay_alu instid0(VALU_DEP_2) | instskip(SKIP_1) | instid1(VALU_DEP_3)
	v_or_b32_e32 v14, v14, v9
	v_or_b32_e32 v9, 0x33800000, v9
	v_min_u32_e32 v15, 32, v15
	s_delay_alu instid0(VALU_DEP_3) | instskip(NEXT) | instid1(VALU_DEP_2)
	v_xor_b32_e32 v14, 1.0, v14
	v_sub_nc_u32_e32 v16, 31, v15
	v_add_lshl_u32 v8, v15, v8, 23
	s_delay_alu instid0(VALU_DEP_3) | instskip(NEXT) | instid1(VALU_DEP_3)
	v_mul_f32_e32 v15, 0x3fc90fda, v14
	v_alignbit_b32 v7, v11, v7, v16
	s_delay_alu instid0(VALU_DEP_3) | instskip(NEXT) | instid1(VALU_DEP_3)
	v_sub_nc_u32_e32 v8, v9, v8
	v_fma_f32 v9, 0x3fc90fda, v14, -v15
	s_delay_alu instid0(VALU_DEP_3) | instskip(NEXT) | instid1(VALU_DEP_2)
	v_lshrrev_b32_e32 v7, 9, v7
	v_fmac_f32_e32 v9, 0x33a22168, v14
	s_delay_alu instid0(VALU_DEP_2) | instskip(NEXT) | instid1(VALU_DEP_1)
	v_or_b32_e32 v7, v8, v7
	v_dual_fmac_f32 v9, 0x3fc90fda, v7 :: v_dual_add_nc_u32 v8, v13, v2
	s_delay_alu instid0(VALU_DEP_1)
	v_add_f32_e32 v7, v15, v9
.LBB5_4:                                ;   in Loop: Header=BB5_2 Depth=1
	s_or_saveexec_b32 s3, s29
	v_mul_f32_e64 v2, 0x3f22f983, |v5|
	s_delay_alu instid0(VALU_DEP_1)
	v_rndne_f32_e32 v2, v2
	s_xor_b32 exec_lo, exec_lo, s3
; %bb.5:                                ;   in Loop: Header=BB5_2 Depth=1
	s_delay_alu instid0(VALU_DEP_1) | instskip(SKIP_1) | instid1(VALU_DEP_2)
	v_fma_f32 v7, 0xbfc90fda, v2, |v5|
	v_cvt_i32_f32_e32 v8, v2
	v_fmac_f32_e32 v7, 0xb3a22168, v2
	s_delay_alu instid0(VALU_DEP_1)
	v_fmac_f32_e32 v7, 0xa7c234c4, v2
; %bb.6:                                ;   in Loop: Header=BB5_2 Depth=1
	s_or_b32 exec_lo, exec_lo, s3
                                        ; implicit-def: $vgpr11
                                        ; implicit-def: $vgpr9
	s_and_saveexec_b32 s3, s28
	s_delay_alu instid0(SALU_CYCLE_1)
	s_xor_b32 s28, exec_lo, s3
	s_cbranch_execz .LBB5_8
; %bb.7:                                ;   in Loop: Header=BB5_2 Depth=1
	v_mad_u64_u32 v[13:14], null, 0xfe5163ab, v10, 0
	v_cmp_lt_u32_e32 vcc_lo, 63, v12
	v_cndmask_b32_e64 v9, 0, 0xffffffc0, vcc_lo
	s_delay_alu instid0(VALU_DEP_1) | instskip(NEXT) | instid1(VALU_DEP_1)
	v_dual_mov_b32 v2, v14 :: v_dual_add_nc_u32 v9, v9, v12
	v_mad_u64_u32 v[14:15], null, 0x3c439041, v10, v[2:3]
	s_delay_alu instid0(VALU_DEP_2) | instskip(NEXT) | instid1(VALU_DEP_2)
	v_cmp_lt_u32_e64 s3, 31, v9
	v_mov_b32_e32 v2, v15
	s_delay_alu instid0(VALU_DEP_1) | instskip(NEXT) | instid1(VALU_DEP_1)
	v_mad_u64_u32 v[15:16], null, 0xdb629599, v10, v[2:3]
	v_mov_b32_e32 v2, v16
	s_delay_alu instid0(VALU_DEP_1) | instskip(NEXT) | instid1(VALU_DEP_1)
	v_mad_u64_u32 v[16:17], null, 0xf534ddc0, v10, v[2:3]
	;; [unrolled: 3-line block ×3, first 2 shown]
	v_mov_b32_e32 v2, v18
	v_cndmask_b32_e64 v18, 0, 0xffffffe0, s3
	s_delay_alu instid0(VALU_DEP_2) | instskip(NEXT) | instid1(VALU_DEP_2)
	v_mad_u64_u32 v[11:12], null, 0x4e441529, v10, v[2:3]
	v_add_nc_u32_e32 v9, v18, v9
	s_delay_alu instid0(VALU_DEP_1) | instskip(NEXT) | instid1(VALU_DEP_3)
	v_cmp_lt_u32_e64 s4, 31, v9
	v_mov_b32_e32 v2, v12
	s_delay_alu instid0(VALU_DEP_1) | instskip(NEXT) | instid1(VALU_DEP_3)
	v_mad_u64_u32 v[18:19], null, 0xa2f9836e, v10, v[2:3]
	v_cndmask_b32_e64 v2, 0, 0xffffffe0, s4
	v_cndmask_b32_e32 v10, v11, v16, vcc_lo
	s_delay_alu instid0(VALU_DEP_2) | instskip(NEXT) | instid1(VALU_DEP_4)
	v_add_nc_u32_e32 v2, v2, v9
	v_dual_cndmask_b32 v12, v18, v17 :: v_dual_cndmask_b32 v11, v19, v11
	v_cndmask_b32_e32 v17, v17, v15, vcc_lo
	v_cndmask_b32_e32 v9, v16, v14, vcc_lo
	s_delay_alu instid0(VALU_DEP_4) | instskip(NEXT) | instid1(VALU_DEP_4)
	v_cmp_eq_u32_e64 s5, 0, v2
	v_cndmask_b32_e64 v14, v12, v10, s3
	v_cndmask_b32_e64 v11, v11, v12, s3
	v_cndmask_b32_e64 v10, v10, v17, s3
	v_sub_nc_u32_e32 v12, 32, v2
	v_cndmask_b32_e64 v16, v17, v9, s3
	s_delay_alu instid0(VALU_DEP_4) | instskip(NEXT) | instid1(VALU_DEP_4)
	v_cndmask_b32_e64 v11, v11, v14, s4
	v_cndmask_b32_e64 v14, v14, v10, s4
	s_delay_alu instid0(VALU_DEP_3) | instskip(NEXT) | instid1(VALU_DEP_2)
	v_cndmask_b32_e64 v10, v10, v16, s4
	v_alignbit_b32 v17, v11, v14, v12
	s_delay_alu instid0(VALU_DEP_2) | instskip(NEXT) | instid1(VALU_DEP_2)
	v_alignbit_b32 v18, v14, v10, v12
	v_cndmask_b32_e64 v2, v17, v11, s5
	v_cndmask_b32_e32 v11, v15, v13, vcc_lo
	s_delay_alu instid0(VALU_DEP_3) | instskip(NEXT) | instid1(VALU_DEP_3)
	v_cndmask_b32_e64 v13, v18, v14, s5
	v_bfe_u32 v14, v2, 29, 1
	s_delay_alu instid0(VALU_DEP_3) | instskip(NEXT) | instid1(VALU_DEP_3)
	v_cndmask_b32_e64 v9, v9, v11, s3
	v_alignbit_b32 v11, v2, v13, 30
	s_delay_alu instid0(VALU_DEP_3) | instskip(NEXT) | instid1(VALU_DEP_3)
	v_sub_nc_u32_e32 v15, 0, v14
	v_cndmask_b32_e64 v9, v16, v9, s4
	s_delay_alu instid0(VALU_DEP_2) | instskip(NEXT) | instid1(VALU_DEP_2)
	v_xor_b32_e32 v16, v11, v15
	v_alignbit_b32 v12, v10, v9, v12
	v_cmp_ne_u32_e32 vcc_lo, v11, v15
	s_delay_alu instid0(VALU_DEP_3) | instskip(NEXT) | instid1(VALU_DEP_3)
	v_clz_i32_u32_e32 v17, v16
	v_cndmask_b32_e64 v10, v12, v10, s5
	s_delay_alu instid0(VALU_DEP_2) | instskip(NEXT) | instid1(VALU_DEP_2)
	v_add_nc_u32_e32 v12, 1, v17
	v_alignbit_b32 v13, v13, v10, 30
	v_alignbit_b32 v9, v10, v9, 30
	s_delay_alu instid0(VALU_DEP_3) | instskip(NEXT) | instid1(VALU_DEP_3)
	v_cndmask_b32_e32 v11, 33, v12, vcc_lo
	v_xor_b32_e32 v10, v13, v15
	s_delay_alu instid0(VALU_DEP_3) | instskip(NEXT) | instid1(VALU_DEP_3)
	v_xor_b32_e32 v9, v9, v15
	v_sub_nc_u32_e32 v12, 32, v11
	s_delay_alu instid0(VALU_DEP_1) | instskip(NEXT) | instid1(VALU_DEP_3)
	v_alignbit_b32 v13, v16, v10, v12
	v_alignbit_b32 v9, v10, v9, v12
	v_lshrrev_b32_e32 v10, 29, v2
	v_lshrrev_b32_e32 v2, 30, v2
	s_delay_alu instid0(VALU_DEP_3) | instskip(NEXT) | instid1(VALU_DEP_3)
	v_alignbit_b32 v12, v13, v9, 9
	v_lshlrev_b32_e32 v10, 31, v10
	v_alignbit_b32 v13, v11, v13, 9
	s_delay_alu instid0(VALU_DEP_3) | instskip(NEXT) | instid1(VALU_DEP_2)
	v_clz_i32_u32_e32 v15, v12
	v_or_b32_e32 v13, v13, v10
	v_or_b32_e32 v10, 0x33800000, v10
	s_delay_alu instid0(VALU_DEP_3) | instskip(NEXT) | instid1(VALU_DEP_3)
	v_min_u32_e32 v15, 32, v15
	v_xor_b32_e32 v13, 1.0, v13
	s_delay_alu instid0(VALU_DEP_2) | instskip(SKIP_1) | instid1(VALU_DEP_3)
	v_sub_nc_u32_e32 v16, 31, v15
	v_add_lshl_u32 v11, v15, v11, 23
	v_mul_f32_e32 v15, 0x3fc90fda, v13
	s_delay_alu instid0(VALU_DEP_3) | instskip(NEXT) | instid1(VALU_DEP_3)
	v_alignbit_b32 v9, v12, v9, v16
	v_sub_nc_u32_e32 v10, v10, v11
	s_delay_alu instid0(VALU_DEP_3) | instskip(NEXT) | instid1(VALU_DEP_3)
	v_fma_f32 v11, 0x3fc90fda, v13, -v15
	v_lshrrev_b32_e32 v9, 9, v9
	s_delay_alu instid0(VALU_DEP_2) | instskip(NEXT) | instid1(VALU_DEP_2)
	v_fmac_f32_e32 v11, 0x33a22168, v13
	v_or_b32_e32 v9, v10, v9
	s_delay_alu instid0(VALU_DEP_1) | instskip(NEXT) | instid1(VALU_DEP_1)
	v_fmac_f32_e32 v11, 0x3fc90fda, v9
	v_add_f32_e32 v9, v15, v11
	v_add_nc_u32_e32 v11, v14, v2
                                        ; implicit-def: $vgpr2
	s_and_not1_saveexec_b32 s3, s28
	s_cbranch_execnz .LBB5_9
	s_branch .LBB5_10
.LBB5_8:                                ;   in Loop: Header=BB5_2 Depth=1
	s_and_not1_saveexec_b32 s3, s28
.LBB5_9:                                ;   in Loop: Header=BB5_2 Depth=1
	v_fma_f32 v9, 0xbfc90fda, v2, |v5|
	v_cvt_i32_f32_e32 v11, v2
	s_delay_alu instid0(VALU_DEP_2) | instskip(NEXT) | instid1(VALU_DEP_1)
	v_fmac_f32_e32 v9, 0xb3a22168, v2
	v_fmac_f32_e32 v9, 0xa7c234c4, v2
.LBB5_10:                               ;   in Loop: Header=BB5_2 Depth=1
	s_or_b32 exec_lo, exec_lo, s3
	v_add_co_u32 v12, vcc_lo, s14, v0
	v_add_co_ci_u32_e32 v13, vcc_lo, s15, v1, vcc_lo
                                        ; implicit-def: $vgpr14
	global_load_b32 v10, v[12:13], off
                                        ; implicit-def: $vgpr13
	s_waitcnt vmcnt(0)
	v_and_b32_e32 v12, 0x7fffffff, v10
	v_cmp_ngt_f32_e64 s28, 0x48000000, |v10|
	s_delay_alu instid0(VALU_DEP_2) | instskip(SKIP_1) | instid1(VALU_DEP_2)
	v_lshrrev_b32_e32 v2, 23, v12
	v_and_or_b32 v16, v12, s25, 0x800000
	v_add_nc_u32_e32 v18, 0xffffff88, v2
	s_delay_alu instid0(VALU_DEP_4) | instskip(NEXT) | instid1(SALU_CYCLE_1)
	s_and_saveexec_b32 s3, s28
	s_xor_b32 s29, exec_lo, s3
	s_cbranch_execz .LBB5_12
; %bb.11:                               ;   in Loop: Header=BB5_2 Depth=1
	v_mad_u64_u32 v[13:14], null, 0xfe5163ab, v16, 0
	v_cmp_lt_u32_e32 vcc_lo, 63, v18
	s_delay_alu instid0(VALU_DEP_2) | instskip(NEXT) | instid1(VALU_DEP_1)
	v_mov_b32_e32 v2, v14
	v_mad_u64_u32 v[14:15], null, 0x3c439041, v16, v[2:3]
	s_delay_alu instid0(VALU_DEP_1) | instskip(SKIP_1) | instid1(VALU_DEP_1)
	v_mov_b32_e32 v2, v15
	v_cndmask_b32_e64 v15, 0, 0xffffffc0, vcc_lo
	v_add_nc_u32_e32 v15, v15, v18
	s_delay_alu instid0(VALU_DEP_1) | instskip(NEXT) | instid1(VALU_DEP_1)
	v_cmp_lt_u32_e64 s3, 31, v15
	v_cndmask_b32_e64 v17, 0, 0xffffffe0, s3
	s_delay_alu instid0(VALU_DEP_1) | instskip(SKIP_1) | instid1(VALU_DEP_2)
	v_add_nc_u32_e32 v15, v17, v15
	v_mad_u64_u32 v[19:20], null, 0xdb629599, v16, v[2:3]
	v_cmp_lt_u32_e64 s4, 31, v15
	s_delay_alu instid0(VALU_DEP_2) | instskip(NEXT) | instid1(VALU_DEP_1)
	v_dual_mov_b32 v2, v20 :: v_dual_cndmask_b32 v13, v19, v13
	v_mad_u64_u32 v[20:21], null, 0xf534ddc0, v16, v[2:3]
	s_delay_alu instid0(VALU_DEP_1) | instskip(NEXT) | instid1(VALU_DEP_2)
	v_mov_b32_e32 v2, v21
	v_cndmask_b32_e32 v14, v20, v14, vcc_lo
	s_delay_alu instid0(VALU_DEP_2) | instskip(NEXT) | instid1(VALU_DEP_2)
	v_mad_u64_u32 v[21:22], null, 0xfc2757d1, v16, v[2:3]
	v_cndmask_b32_e64 v13, v14, v13, s3
	s_delay_alu instid0(VALU_DEP_2) | instskip(NEXT) | instid1(VALU_DEP_1)
	v_mov_b32_e32 v2, v22
	v_mad_u64_u32 v[22:23], null, 0x4e441529, v16, v[2:3]
	s_delay_alu instid0(VALU_DEP_1) | instskip(NEXT) | instid1(VALU_DEP_1)
	v_dual_mov_b32 v2, v23 :: v_dual_cndmask_b32 v17, v22, v20
	v_mad_u64_u32 v[23:24], null, 0xa2f9836e, v16, v[2:3]
	v_cndmask_b32_e64 v2, 0, 0xffffffe0, s4
	s_delay_alu instid0(VALU_DEP_1) | instskip(NEXT) | instid1(VALU_DEP_3)
	v_dual_cndmask_b32 v23, v23, v21 :: v_dual_add_nc_u32 v2, v2, v15
	v_dual_cndmask_b32 v22, v24, v22 :: v_dual_cndmask_b32 v21, v21, v19
	s_delay_alu instid0(VALU_DEP_2) | instskip(NEXT) | instid1(VALU_DEP_3)
	v_cmp_eq_u32_e64 s5, 0, v2
	v_cndmask_b32_e64 v15, v23, v17, s3
	s_delay_alu instid0(VALU_DEP_3) | instskip(NEXT) | instid1(VALU_DEP_4)
	v_cndmask_b32_e64 v20, v22, v23, s3
	v_cndmask_b32_e64 v17, v17, v21, s3
	v_sub_nc_u32_e32 v22, 32, v2
	v_cndmask_b32_e64 v21, v21, v14, s3
	s_delay_alu instid0(VALU_DEP_4) | instskip(NEXT) | instid1(VALU_DEP_4)
	v_cndmask_b32_e64 v20, v20, v15, s4
	v_cndmask_b32_e64 v15, v15, v17, s4
	s_delay_alu instid0(VALU_DEP_3) | instskip(SKIP_1) | instid1(VALU_DEP_3)
	v_cndmask_b32_e64 v17, v17, v21, s4
	v_cndmask_b32_e64 v13, v21, v13, s4
	v_alignbit_b32 v23, v20, v15, v22
	s_delay_alu instid0(VALU_DEP_3) | instskip(NEXT) | instid1(VALU_DEP_3)
	v_alignbit_b32 v24, v15, v17, v22
	v_alignbit_b32 v22, v17, v13, v22
	s_delay_alu instid0(VALU_DEP_3) | instskip(NEXT) | instid1(VALU_DEP_3)
	v_cndmask_b32_e64 v2, v23, v20, s5
	v_cndmask_b32_e64 v15, v24, v15, s5
	s_delay_alu instid0(VALU_DEP_3) | instskip(NEXT) | instid1(VALU_DEP_3)
	v_cndmask_b32_e64 v17, v22, v17, s5
	v_bfe_u32 v19, v2, 29, 1
	s_delay_alu instid0(VALU_DEP_3) | instskip(NEXT) | instid1(VALU_DEP_3)
	v_alignbit_b32 v14, v2, v15, 30
	v_alignbit_b32 v15, v15, v17, 30
	;; [unrolled: 1-line block ×3, first 2 shown]
	s_delay_alu instid0(VALU_DEP_4) | instskip(NEXT) | instid1(VALU_DEP_1)
	v_sub_nc_u32_e32 v20, 0, v19
	v_xor_b32_e32 v21, v14, v20
	v_cmp_ne_u32_e32 vcc_lo, v14, v20
	v_xor_b32_e32 v15, v15, v20
	v_xor_b32_e32 v13, v13, v20
	s_delay_alu instid0(VALU_DEP_4) | instskip(NEXT) | instid1(VALU_DEP_1)
	v_clz_i32_u32_e32 v23, v21
	v_add_nc_u32_e32 v22, 1, v23
	s_delay_alu instid0(VALU_DEP_1) | instskip(NEXT) | instid1(VALU_DEP_1)
	v_cndmask_b32_e32 v14, 33, v22, vcc_lo
	v_sub_nc_u32_e32 v17, 32, v14
	s_delay_alu instid0(VALU_DEP_1) | instskip(SKIP_3) | instid1(VALU_DEP_3)
	v_alignbit_b32 v20, v21, v15, v17
	v_alignbit_b32 v13, v15, v13, v17
	v_lshrrev_b32_e32 v15, 29, v2
	v_lshrrev_b32_e32 v2, 30, v2
	v_alignbit_b32 v17, v20, v13, 9
	s_delay_alu instid0(VALU_DEP_3) | instskip(SKIP_1) | instid1(VALU_DEP_3)
	v_lshlrev_b32_e32 v15, 31, v15
	v_alignbit_b32 v20, v14, v20, 9
	v_clz_i32_u32_e32 v21, v17
	s_delay_alu instid0(VALU_DEP_2) | instskip(SKIP_1) | instid1(VALU_DEP_3)
	v_or_b32_e32 v20, v20, v15
	v_or_b32_e32 v15, 0x33800000, v15
	v_min_u32_e32 v21, 32, v21
	s_delay_alu instid0(VALU_DEP_3) | instskip(NEXT) | instid1(VALU_DEP_2)
	v_xor_b32_e32 v20, 1.0, v20
	v_sub_nc_u32_e32 v22, 31, v21
	v_add_lshl_u32 v14, v21, v14, 23
	s_delay_alu instid0(VALU_DEP_3) | instskip(NEXT) | instid1(VALU_DEP_3)
	v_mul_f32_e32 v21, 0x3fc90fda, v20
	v_alignbit_b32 v13, v17, v13, v22
	s_delay_alu instid0(VALU_DEP_3) | instskip(NEXT) | instid1(VALU_DEP_3)
	v_sub_nc_u32_e32 v14, v15, v14
	v_fma_f32 v15, 0x3fc90fda, v20, -v21
	s_delay_alu instid0(VALU_DEP_3) | instskip(NEXT) | instid1(VALU_DEP_2)
	v_lshrrev_b32_e32 v13, 9, v13
	v_fmac_f32_e32 v15, 0x33a22168, v20
	s_delay_alu instid0(VALU_DEP_2) | instskip(NEXT) | instid1(VALU_DEP_1)
	v_or_b32_e32 v13, v14, v13
	v_dual_fmac_f32 v15, 0x3fc90fda, v13 :: v_dual_add_nc_u32 v14, v19, v2
	s_delay_alu instid0(VALU_DEP_1)
	v_add_f32_e32 v13, v21, v15
.LBB5_12:                               ;   in Loop: Header=BB5_2 Depth=1
	s_or_saveexec_b32 s3, s29
	v_mul_f32_e64 v2, 0x3f22f983, |v10|
	s_delay_alu instid0(VALU_DEP_1)
	v_rndne_f32_e32 v2, v2
	s_xor_b32 exec_lo, exec_lo, s3
; %bb.13:                               ;   in Loop: Header=BB5_2 Depth=1
	s_delay_alu instid0(VALU_DEP_1) | instskip(SKIP_1) | instid1(VALU_DEP_2)
	v_fma_f32 v13, 0xbfc90fda, v2, |v10|
	v_cvt_i32_f32_e32 v14, v2
	v_fmac_f32_e32 v13, 0xb3a22168, v2
	s_delay_alu instid0(VALU_DEP_1)
	v_fmac_f32_e32 v13, 0xa7c234c4, v2
; %bb.14:                               ;   in Loop: Header=BB5_2 Depth=1
	s_or_b32 exec_lo, exec_lo, s3
                                        ; implicit-def: $vgpr17
                                        ; implicit-def: $vgpr15
	s_and_saveexec_b32 s3, s28
	s_delay_alu instid0(SALU_CYCLE_1)
	s_xor_b32 s28, exec_lo, s3
	s_cbranch_execz .LBB5_16
; %bb.15:                               ;   in Loop: Header=BB5_2 Depth=1
	v_mad_u64_u32 v[19:20], null, 0xfe5163ab, v16, 0
	v_cmp_lt_u32_e32 vcc_lo, 63, v18
	v_cndmask_b32_e64 v15, 0, 0xffffffc0, vcc_lo
	s_delay_alu instid0(VALU_DEP_1) | instskip(NEXT) | instid1(VALU_DEP_1)
	v_dual_mov_b32 v2, v20 :: v_dual_add_nc_u32 v15, v15, v18
	v_mad_u64_u32 v[20:21], null, 0x3c439041, v16, v[2:3]
	s_delay_alu instid0(VALU_DEP_2) | instskip(NEXT) | instid1(VALU_DEP_2)
	v_cmp_lt_u32_e64 s3, 31, v15
	v_mov_b32_e32 v2, v21
	s_delay_alu instid0(VALU_DEP_1) | instskip(NEXT) | instid1(VALU_DEP_1)
	v_mad_u64_u32 v[21:22], null, 0xdb629599, v16, v[2:3]
	v_mov_b32_e32 v2, v22
	s_delay_alu instid0(VALU_DEP_1) | instskip(NEXT) | instid1(VALU_DEP_1)
	v_mad_u64_u32 v[22:23], null, 0xf534ddc0, v16, v[2:3]
	;; [unrolled: 3-line block ×3, first 2 shown]
	v_mov_b32_e32 v2, v24
	v_cndmask_b32_e64 v24, 0, 0xffffffe0, s3
	s_delay_alu instid0(VALU_DEP_2) | instskip(NEXT) | instid1(VALU_DEP_2)
	v_mad_u64_u32 v[17:18], null, 0x4e441529, v16, v[2:3]
	v_add_nc_u32_e32 v15, v24, v15
	s_delay_alu instid0(VALU_DEP_1) | instskip(NEXT) | instid1(VALU_DEP_3)
	v_cmp_lt_u32_e64 s4, 31, v15
	v_mov_b32_e32 v2, v18
	s_delay_alu instid0(VALU_DEP_1) | instskip(NEXT) | instid1(VALU_DEP_3)
	v_mad_u64_u32 v[24:25], null, 0xa2f9836e, v16, v[2:3]
	v_cndmask_b32_e64 v2, 0, 0xffffffe0, s4
	v_cndmask_b32_e32 v16, v17, v22, vcc_lo
	s_delay_alu instid0(VALU_DEP_2) | instskip(NEXT) | instid1(VALU_DEP_4)
	v_add_nc_u32_e32 v2, v2, v15
	v_dual_cndmask_b32 v18, v24, v23 :: v_dual_cndmask_b32 v17, v25, v17
	v_cndmask_b32_e32 v23, v23, v21, vcc_lo
	v_cndmask_b32_e32 v15, v22, v20, vcc_lo
	s_delay_alu instid0(VALU_DEP_4) | instskip(NEXT) | instid1(VALU_DEP_4)
	v_cmp_eq_u32_e64 s5, 0, v2
	v_cndmask_b32_e64 v20, v18, v16, s3
	v_cndmask_b32_e64 v17, v17, v18, s3
	;; [unrolled: 1-line block ×3, first 2 shown]
	v_sub_nc_u32_e32 v18, 32, v2
	v_cndmask_b32_e64 v22, v23, v15, s3
	s_delay_alu instid0(VALU_DEP_4) | instskip(NEXT) | instid1(VALU_DEP_4)
	v_cndmask_b32_e64 v17, v17, v20, s4
	v_cndmask_b32_e64 v20, v20, v16, s4
	s_delay_alu instid0(VALU_DEP_3) | instskip(NEXT) | instid1(VALU_DEP_2)
	v_cndmask_b32_e64 v16, v16, v22, s4
	v_alignbit_b32 v23, v17, v20, v18
	s_delay_alu instid0(VALU_DEP_2) | instskip(NEXT) | instid1(VALU_DEP_2)
	v_alignbit_b32 v24, v20, v16, v18
	v_cndmask_b32_e64 v2, v23, v17, s5
	v_cndmask_b32_e32 v17, v21, v19, vcc_lo
	s_delay_alu instid0(VALU_DEP_3) | instskip(NEXT) | instid1(VALU_DEP_3)
	v_cndmask_b32_e64 v19, v24, v20, s5
	v_bfe_u32 v20, v2, 29, 1
	s_delay_alu instid0(VALU_DEP_3) | instskip(NEXT) | instid1(VALU_DEP_3)
	v_cndmask_b32_e64 v15, v15, v17, s3
	v_alignbit_b32 v17, v2, v19, 30
	s_delay_alu instid0(VALU_DEP_3) | instskip(NEXT) | instid1(VALU_DEP_3)
	v_sub_nc_u32_e32 v21, 0, v20
	v_cndmask_b32_e64 v15, v22, v15, s4
	s_delay_alu instid0(VALU_DEP_2) | instskip(NEXT) | instid1(VALU_DEP_2)
	v_xor_b32_e32 v22, v17, v21
	v_alignbit_b32 v18, v16, v15, v18
	v_cmp_ne_u32_e32 vcc_lo, v17, v21
	s_delay_alu instid0(VALU_DEP_3) | instskip(NEXT) | instid1(VALU_DEP_3)
	v_clz_i32_u32_e32 v23, v22
	v_cndmask_b32_e64 v16, v18, v16, s5
	s_delay_alu instid0(VALU_DEP_2) | instskip(NEXT) | instid1(VALU_DEP_2)
	v_add_nc_u32_e32 v18, 1, v23
	v_alignbit_b32 v19, v19, v16, 30
	v_alignbit_b32 v15, v16, v15, 30
	s_delay_alu instid0(VALU_DEP_3) | instskip(NEXT) | instid1(VALU_DEP_3)
	v_cndmask_b32_e32 v17, 33, v18, vcc_lo
	v_xor_b32_e32 v16, v19, v21
	s_delay_alu instid0(VALU_DEP_3) | instskip(NEXT) | instid1(VALU_DEP_3)
	v_xor_b32_e32 v15, v15, v21
	v_sub_nc_u32_e32 v18, 32, v17
	s_delay_alu instid0(VALU_DEP_1) | instskip(NEXT) | instid1(VALU_DEP_3)
	v_alignbit_b32 v19, v22, v16, v18
	v_alignbit_b32 v15, v16, v15, v18
	v_lshrrev_b32_e32 v16, 29, v2
	v_lshrrev_b32_e32 v2, 30, v2
	s_delay_alu instid0(VALU_DEP_3) | instskip(NEXT) | instid1(VALU_DEP_3)
	v_alignbit_b32 v18, v19, v15, 9
	v_lshlrev_b32_e32 v16, 31, v16
	v_alignbit_b32 v19, v17, v19, 9
	s_delay_alu instid0(VALU_DEP_3) | instskip(NEXT) | instid1(VALU_DEP_2)
	v_clz_i32_u32_e32 v21, v18
	v_or_b32_e32 v19, v19, v16
	v_or_b32_e32 v16, 0x33800000, v16
	s_delay_alu instid0(VALU_DEP_3) | instskip(NEXT) | instid1(VALU_DEP_3)
	v_min_u32_e32 v21, 32, v21
	v_xor_b32_e32 v19, 1.0, v19
	s_delay_alu instid0(VALU_DEP_2) | instskip(SKIP_1) | instid1(VALU_DEP_3)
	v_sub_nc_u32_e32 v22, 31, v21
	v_add_lshl_u32 v17, v21, v17, 23
	v_mul_f32_e32 v21, 0x3fc90fda, v19
	s_delay_alu instid0(VALU_DEP_3) | instskip(NEXT) | instid1(VALU_DEP_3)
	v_alignbit_b32 v15, v18, v15, v22
	v_sub_nc_u32_e32 v16, v16, v17
	s_delay_alu instid0(VALU_DEP_3) | instskip(NEXT) | instid1(VALU_DEP_3)
	v_fma_f32 v17, 0x3fc90fda, v19, -v21
	v_lshrrev_b32_e32 v15, 9, v15
	s_delay_alu instid0(VALU_DEP_2) | instskip(NEXT) | instid1(VALU_DEP_2)
	v_fmac_f32_e32 v17, 0x33a22168, v19
	v_or_b32_e32 v15, v16, v15
	s_delay_alu instid0(VALU_DEP_1) | instskip(NEXT) | instid1(VALU_DEP_1)
	v_fmac_f32_e32 v17, 0x3fc90fda, v15
	v_add_f32_e32 v15, v21, v17
	v_add_nc_u32_e32 v17, v20, v2
                                        ; implicit-def: $vgpr2
	s_and_not1_saveexec_b32 s3, s28
	s_cbranch_execnz .LBB5_17
	s_branch .LBB5_18
.LBB5_16:                               ;   in Loop: Header=BB5_2 Depth=1
	s_and_not1_saveexec_b32 s3, s28
.LBB5_17:                               ;   in Loop: Header=BB5_2 Depth=1
	v_fma_f32 v15, 0xbfc90fda, v2, |v10|
	v_cvt_i32_f32_e32 v17, v2
	s_delay_alu instid0(VALU_DEP_2) | instskip(NEXT) | instid1(VALU_DEP_1)
	v_fmac_f32_e32 v15, 0xb3a22168, v2
	v_fmac_f32_e32 v15, 0xa7c234c4, v2
.LBB5_18:                               ;   in Loop: Header=BB5_2 Depth=1
	s_or_b32 exec_lo, exec_lo, s3
	v_add_co_u32 v18, vcc_lo, s16, v0
	v_add_co_ci_u32_e32 v19, vcc_lo, s17, v1, vcc_lo
                                        ; implicit-def: $vgpr20
	global_load_b32 v16, v[18:19], off
                                        ; implicit-def: $vgpr19
	s_waitcnt vmcnt(0)
	v_and_b32_e32 v18, 0x7fffffff, v16
	v_cmp_ngt_f32_e64 s28, 0x48000000, |v16|
	s_delay_alu instid0(VALU_DEP_2) | instskip(SKIP_1) | instid1(VALU_DEP_2)
	v_lshrrev_b32_e32 v2, 23, v18
	v_and_or_b32 v21, v18, s25, 0x800000
	v_add_nc_u32_e32 v22, 0xffffff88, v2
	s_delay_alu instid0(VALU_DEP_4) | instskip(NEXT) | instid1(SALU_CYCLE_1)
	s_and_saveexec_b32 s3, s28
	s_xor_b32 s29, exec_lo, s3
	s_cbranch_execz .LBB5_20
; %bb.19:                               ;   in Loop: Header=BB5_2 Depth=1
	v_mad_u64_u32 v[19:20], null, 0xfe5163ab, v21, 0
	v_cmp_lt_u32_e32 vcc_lo, 63, v22
	s_delay_alu instid0(VALU_DEP_2) | instskip(SKIP_1) | instid1(VALU_DEP_2)
	v_mov_b32_e32 v2, v20
	v_cndmask_b32_e64 v20, 0, 0xffffffc0, vcc_lo
	v_mad_u64_u32 v[23:24], null, 0x3c439041, v21, v[2:3]
	s_delay_alu instid0(VALU_DEP_2) | instskip(NEXT) | instid1(VALU_DEP_1)
	v_add_nc_u32_e32 v20, v20, v22
	v_cmp_lt_u32_e64 s3, 31, v20
	s_delay_alu instid0(VALU_DEP_3) | instskip(NEXT) | instid1(VALU_DEP_2)
	v_mov_b32_e32 v2, v24
	v_cndmask_b32_e64 v29, 0, 0xffffffe0, s3
	s_delay_alu instid0(VALU_DEP_2) | instskip(NEXT) | instid1(VALU_DEP_2)
	v_mad_u64_u32 v[24:25], null, 0xdb629599, v21, v[2:3]
	v_add_nc_u32_e32 v20, v29, v20
	s_delay_alu instid0(VALU_DEP_2) | instskip(NEXT) | instid1(VALU_DEP_2)
	v_dual_mov_b32 v2, v25 :: v_dual_cndmask_b32 v19, v24, v19
	v_cmp_lt_u32_e64 s4, 31, v20
	s_delay_alu instid0(VALU_DEP_2) | instskip(NEXT) | instid1(VALU_DEP_1)
	v_mad_u64_u32 v[25:26], null, 0xf534ddc0, v21, v[2:3]
	v_mov_b32_e32 v2, v26
	s_delay_alu instid0(VALU_DEP_1) | instskip(NEXT) | instid1(VALU_DEP_1)
	v_mad_u64_u32 v[26:27], null, 0xfc2757d1, v21, v[2:3]
	v_mov_b32_e32 v2, v27
	s_delay_alu instid0(VALU_DEP_1) | instskip(NEXT) | instid1(VALU_DEP_1)
	v_mad_u64_u32 v[27:28], null, 0x4e441529, v21, v[2:3]
	v_mov_b32_e32 v2, v28
	s_delay_alu instid0(VALU_DEP_2) | instskip(NEXT) | instid1(VALU_DEP_2)
	v_cndmask_b32_e32 v30, v27, v25, vcc_lo
	v_mad_u64_u32 v[28:29], null, 0xa2f9836e, v21, v[2:3]
	v_cndmask_b32_e64 v2, 0, 0xffffffe0, s4
	s_delay_alu instid0(VALU_DEP_1) | instskip(NEXT) | instid1(VALU_DEP_3)
	v_add_nc_u32_e32 v2, v2, v20
	v_dual_cndmask_b32 v28, v28, v26 :: v_dual_cndmask_b32 v27, v29, v27
	v_cndmask_b32_e32 v26, v26, v24, vcc_lo
	v_cndmask_b32_e32 v20, v25, v23, vcc_lo
	s_delay_alu instid0(VALU_DEP_4) | instskip(NEXT) | instid1(VALU_DEP_4)
	v_cmp_eq_u32_e64 s5, 0, v2
	v_cndmask_b32_e64 v23, v28, v30, s3
	v_cndmask_b32_e64 v25, v27, v28, s3
	;; [unrolled: 1-line block ×3, first 2 shown]
	v_sub_nc_u32_e32 v28, 32, v2
	v_cndmask_b32_e64 v26, v26, v20, s3
	v_cndmask_b32_e64 v19, v20, v19, s3
	;; [unrolled: 1-line block ×4, first 2 shown]
	s_delay_alu instid0(VALU_DEP_4) | instskip(NEXT) | instid1(VALU_DEP_4)
	v_cndmask_b32_e64 v27, v27, v26, s4
	v_cndmask_b32_e64 v19, v26, v19, s4
	s_delay_alu instid0(VALU_DEP_3) | instskip(NEXT) | instid1(VALU_DEP_3)
	v_alignbit_b32 v29, v25, v23, v28
	v_alignbit_b32 v30, v23, v27, v28
	s_delay_alu instid0(VALU_DEP_3) | instskip(NEXT) | instid1(VALU_DEP_3)
	v_alignbit_b32 v28, v27, v19, v28
	v_cndmask_b32_e64 v2, v29, v25, s5
	s_delay_alu instid0(VALU_DEP_3) | instskip(NEXT) | instid1(VALU_DEP_3)
	v_cndmask_b32_e64 v23, v30, v23, s5
	v_cndmask_b32_e64 v27, v28, v27, s5
	s_delay_alu instid0(VALU_DEP_3) | instskip(NEXT) | instid1(VALU_DEP_3)
	v_bfe_u32 v24, v2, 29, 1
	v_alignbit_b32 v20, v2, v23, 30
	s_delay_alu instid0(VALU_DEP_3) | instskip(SKIP_1) | instid1(VALU_DEP_4)
	v_alignbit_b32 v23, v23, v27, 30
	v_alignbit_b32 v19, v27, v19, 30
	v_sub_nc_u32_e32 v25, 0, v24
	s_delay_alu instid0(VALU_DEP_1) | instskip(SKIP_3) | instid1(VALU_DEP_4)
	v_xor_b32_e32 v26, v20, v25
	v_cmp_ne_u32_e32 vcc_lo, v20, v25
	v_xor_b32_e32 v23, v23, v25
	v_xor_b32_e32 v19, v19, v25
	v_clz_i32_u32_e32 v29, v26
	s_delay_alu instid0(VALU_DEP_1) | instskip(NEXT) | instid1(VALU_DEP_1)
	v_add_nc_u32_e32 v28, 1, v29
	v_cndmask_b32_e32 v20, 33, v28, vcc_lo
	s_delay_alu instid0(VALU_DEP_1) | instskip(NEXT) | instid1(VALU_DEP_1)
	v_sub_nc_u32_e32 v27, 32, v20
	v_alignbit_b32 v25, v26, v23, v27
	v_alignbit_b32 v19, v23, v19, v27
	v_lshrrev_b32_e32 v23, 29, v2
	v_lshrrev_b32_e32 v2, 30, v2
	s_delay_alu instid0(VALU_DEP_3) | instskip(NEXT) | instid1(VALU_DEP_3)
	v_alignbit_b32 v26, v25, v19, 9
	v_lshlrev_b32_e32 v23, 31, v23
	v_alignbit_b32 v25, v20, v25, 9
	s_delay_alu instid0(VALU_DEP_3) | instskip(NEXT) | instid1(VALU_DEP_2)
	v_clz_i32_u32_e32 v27, v26
	v_or_b32_e32 v25, v25, v23
	v_or_b32_e32 v23, 0x33800000, v23
	s_delay_alu instid0(VALU_DEP_3) | instskip(NEXT) | instid1(VALU_DEP_3)
	v_min_u32_e32 v27, 32, v27
	v_xor_b32_e32 v25, 1.0, v25
	s_delay_alu instid0(VALU_DEP_2) | instskip(SKIP_1) | instid1(VALU_DEP_3)
	v_sub_nc_u32_e32 v28, 31, v27
	v_add_lshl_u32 v20, v27, v20, 23
	v_mul_f32_e32 v27, 0x3fc90fda, v25
	s_delay_alu instid0(VALU_DEP_3) | instskip(NEXT) | instid1(VALU_DEP_3)
	v_alignbit_b32 v19, v26, v19, v28
	v_sub_nc_u32_e32 v20, v23, v20
	s_delay_alu instid0(VALU_DEP_3) | instskip(NEXT) | instid1(VALU_DEP_3)
	v_fma_f32 v23, 0x3fc90fda, v25, -v27
	v_lshrrev_b32_e32 v19, 9, v19
	s_delay_alu instid0(VALU_DEP_2) | instskip(NEXT) | instid1(VALU_DEP_2)
	v_fmac_f32_e32 v23, 0x33a22168, v25
	v_or_b32_e32 v19, v20, v19
	s_delay_alu instid0(VALU_DEP_1) | instskip(NEXT) | instid1(VALU_DEP_1)
	v_dual_fmac_f32 v23, 0x3fc90fda, v19 :: v_dual_add_nc_u32 v20, v24, v2
	v_add_f32_e32 v19, v27, v23
.LBB5_20:                               ;   in Loop: Header=BB5_2 Depth=1
	s_or_saveexec_b32 s3, s29
	v_mul_f32_e64 v2, 0x3f22f983, |v16|
	s_delay_alu instid0(VALU_DEP_1)
	v_rndne_f32_e32 v24, v2
	s_xor_b32 exec_lo, exec_lo, s3
; %bb.21:                               ;   in Loop: Header=BB5_2 Depth=1
	s_delay_alu instid0(VALU_DEP_1) | instskip(SKIP_1) | instid1(VALU_DEP_2)
	v_fma_f32 v19, 0xbfc90fda, v24, |v16|
	v_cvt_i32_f32_e32 v20, v24
	v_fmac_f32_e32 v19, 0xb3a22168, v24
	s_delay_alu instid0(VALU_DEP_1)
	v_fmac_f32_e32 v19, 0xa7c234c4, v24
; %bb.22:                               ;   in Loop: Header=BB5_2 Depth=1
	s_or_b32 exec_lo, exec_lo, s3
                                        ; implicit-def: $vgpr23
                                        ; implicit-def: $vgpr2
	s_and_saveexec_b32 s3, s28
	s_delay_alu instid0(SALU_CYCLE_1)
	s_xor_b32 s28, exec_lo, s3
	s_cbranch_execz .LBB5_24
; %bb.23:                               ;   in Loop: Header=BB5_2 Depth=1
	v_mad_u64_u32 v[23:24], null, 0xfe5163ab, v21, 0
	v_cmp_lt_u32_e32 vcc_lo, 63, v22
	v_cndmask_b32_e64 v29, 0, 0xffffffc0, vcc_lo
	s_delay_alu instid0(VALU_DEP_3) | instskip(NEXT) | instid1(VALU_DEP_2)
	v_mov_b32_e32 v2, v24
	v_add_nc_u32_e32 v22, v29, v22
	s_delay_alu instid0(VALU_DEP_2) | instskip(NEXT) | instid1(VALU_DEP_2)
	v_mad_u64_u32 v[24:25], null, 0x3c439041, v21, v[2:3]
	v_cmp_lt_u32_e64 s3, 31, v22
	s_delay_alu instid0(VALU_DEP_2) | instskip(NEXT) | instid1(VALU_DEP_2)
	v_mov_b32_e32 v2, v25
	v_cndmask_b32_e64 v30, 0, 0xffffffe0, s3
	s_delay_alu instid0(VALU_DEP_2) | instskip(NEXT) | instid1(VALU_DEP_2)
	v_mad_u64_u32 v[25:26], null, 0xdb629599, v21, v[2:3]
	v_add_nc_u32_e32 v22, v30, v22
	s_delay_alu instid0(VALU_DEP_1) | instskip(NEXT) | instid1(VALU_DEP_3)
	v_cmp_lt_u32_e64 s4, 31, v22
	v_dual_mov_b32 v2, v26 :: v_dual_cndmask_b32 v23, v25, v23
	s_delay_alu instid0(VALU_DEP_1) | instskip(NEXT) | instid1(VALU_DEP_1)
	v_mad_u64_u32 v[26:27], null, 0xf534ddc0, v21, v[2:3]
	v_mov_b32_e32 v2, v27
	s_delay_alu instid0(VALU_DEP_1) | instskip(NEXT) | instid1(VALU_DEP_1)
	v_mad_u64_u32 v[27:28], null, 0xfc2757d1, v21, v[2:3]
	v_mov_b32_e32 v2, v28
	;; [unrolled: 3-line block ×3, first 2 shown]
	s_delay_alu instid0(VALU_DEP_1) | instskip(SKIP_1) | instid1(VALU_DEP_4)
	v_mad_u64_u32 v[29:30], null, 0xa2f9836e, v21, v[2:3]
	v_cndmask_b32_e64 v2, 0, 0xffffffe0, s4
	v_cndmask_b32_e32 v21, v28, v26, vcc_lo
	s_delay_alu instid0(VALU_DEP_2) | instskip(NEXT) | instid1(VALU_DEP_4)
	v_dual_cndmask_b32 v29, v29, v27 :: v_dual_add_nc_u32 v2, v2, v22
	v_dual_cndmask_b32 v28, v30, v28 :: v_dual_cndmask_b32 v27, v27, v25
	v_cndmask_b32_e32 v22, v26, v24, vcc_lo
	s_delay_alu instid0(VALU_DEP_3) | instskip(NEXT) | instid1(VALU_DEP_4)
	v_cmp_eq_u32_e64 s5, 0, v2
	v_cndmask_b32_e64 v24, v29, v21, s3
	s_delay_alu instid0(VALU_DEP_4)
	v_cndmask_b32_e64 v26, v28, v29, s3
	v_cndmask_b32_e64 v21, v21, v27, s3
	v_sub_nc_u32_e32 v28, 32, v2
	v_cndmask_b32_e64 v27, v27, v22, s3
	v_cndmask_b32_e64 v22, v22, v23, s3
	;; [unrolled: 1-line block ×4, first 2 shown]
	s_delay_alu instid0(VALU_DEP_4) | instskip(NEXT) | instid1(VALU_DEP_4)
	v_cndmask_b32_e64 v21, v21, v27, s4
	v_cndmask_b32_e64 v22, v27, v22, s4
	s_delay_alu instid0(VALU_DEP_3) | instskip(NEXT) | instid1(VALU_DEP_3)
	v_alignbit_b32 v29, v26, v24, v28
	v_alignbit_b32 v30, v24, v21, v28
	s_delay_alu instid0(VALU_DEP_3) | instskip(NEXT) | instid1(VALU_DEP_3)
	v_alignbit_b32 v28, v21, v22, v28
	v_cndmask_b32_e64 v2, v29, v26, s5
	s_delay_alu instid0(VALU_DEP_3) | instskip(NEXT) | instid1(VALU_DEP_3)
	v_cndmask_b32_e64 v24, v30, v24, s5
	v_cndmask_b32_e64 v21, v28, v21, s5
	s_delay_alu instid0(VALU_DEP_3) | instskip(NEXT) | instid1(VALU_DEP_3)
	v_bfe_u32 v25, v2, 29, 1
	v_alignbit_b32 v23, v2, v24, 30
	s_delay_alu instid0(VALU_DEP_3) | instskip(SKIP_1) | instid1(VALU_DEP_4)
	v_alignbit_b32 v24, v24, v21, 30
	v_alignbit_b32 v21, v21, v22, 30
	v_sub_nc_u32_e32 v26, 0, v25
	s_delay_alu instid0(VALU_DEP_1) | instskip(SKIP_3) | instid1(VALU_DEP_4)
	v_xor_b32_e32 v27, v23, v26
	v_cmp_ne_u32_e32 vcc_lo, v23, v26
	v_xor_b32_e32 v22, v24, v26
	v_xor_b32_e32 v21, v21, v26
	v_clz_i32_u32_e32 v29, v27
	s_delay_alu instid0(VALU_DEP_1) | instskip(NEXT) | instid1(VALU_DEP_1)
	v_add_nc_u32_e32 v28, 1, v29
	v_cndmask_b32_e32 v23, 33, v28, vcc_lo
	s_delay_alu instid0(VALU_DEP_1) | instskip(NEXT) | instid1(VALU_DEP_1)
	v_sub_nc_u32_e32 v24, 32, v23
	v_alignbit_b32 v26, v27, v22, v24
	v_alignbit_b32 v21, v22, v21, v24
	v_lshrrev_b32_e32 v22, 29, v2
	s_delay_alu instid0(VALU_DEP_2) | instskip(NEXT) | instid1(VALU_DEP_2)
	v_alignbit_b32 v24, v26, v21, 9
	v_lshlrev_b32_e32 v22, 31, v22
	v_alignbit_b32 v26, v23, v26, 9
	s_delay_alu instid0(VALU_DEP_3) | instskip(NEXT) | instid1(VALU_DEP_2)
	v_clz_i32_u32_e32 v27, v24
	v_or_b32_e32 v26, v26, v22
	v_or_b32_e32 v22, 0x33800000, v22
	s_delay_alu instid0(VALU_DEP_3) | instskip(NEXT) | instid1(VALU_DEP_3)
	v_min_u32_e32 v27, 32, v27
	v_xor_b32_e32 v26, 1.0, v26
	s_delay_alu instid0(VALU_DEP_2) | instskip(SKIP_1) | instid1(VALU_DEP_3)
	v_sub_nc_u32_e32 v28, 31, v27
	v_add_lshl_u32 v23, v27, v23, 23
	v_mul_f32_e32 v27, 0x3fc90fda, v26
	s_delay_alu instid0(VALU_DEP_3) | instskip(NEXT) | instid1(VALU_DEP_3)
	v_alignbit_b32 v21, v24, v21, v28
	v_sub_nc_u32_e32 v22, v22, v23
	s_delay_alu instid0(VALU_DEP_3) | instskip(NEXT) | instid1(VALU_DEP_3)
	v_fma_f32 v23, 0x3fc90fda, v26, -v27
                                        ; implicit-def: $vgpr24
	v_lshrrev_b32_e32 v21, 9, v21
	s_delay_alu instid0(VALU_DEP_2) | instskip(NEXT) | instid1(VALU_DEP_2)
	v_fmac_f32_e32 v23, 0x33a22168, v26
	v_or_b32_e32 v21, v22, v21
	s_delay_alu instid0(VALU_DEP_1) | instskip(SKIP_1) | instid1(VALU_DEP_1)
	v_fmac_f32_e32 v23, 0x3fc90fda, v21
	v_lshrrev_b32_e32 v21, 30, v2
	v_dual_add_f32 v2, v27, v23 :: v_dual_add_nc_u32 v23, v25, v21
	s_and_not1_saveexec_b32 s3, s28
	s_cbranch_execz .LBB5_1
	s_branch .LBB5_25
.LBB5_24:                               ;   in Loop: Header=BB5_2 Depth=1
	s_and_not1_saveexec_b32 s3, s28
	s_cbranch_execz .LBB5_1
.LBB5_25:                               ;   in Loop: Header=BB5_2 Depth=1
	v_fma_f32 v2, 0xbfc90fda, v24, |v16|
	v_cvt_i32_f32_e32 v23, v24
	s_delay_alu instid0(VALU_DEP_2) | instskip(NEXT) | instid1(VALU_DEP_1)
	v_fmac_f32_e32 v2, 0xb3a22168, v24
	v_fmac_f32_e32 v2, 0xa7c234c4, v24
	s_branch .LBB5_1
.LBB5_26:
	s_clause 0x1
	s_load_b64 s[4:5], s[0:1], 0x0
	s_load_b128 s[12:15], s[0:1], 0x48
	scratch_load_b128 v[0:3], off, off offset:128
	v_mov_b32_e32 v4, 0
	s_mov_b32 s17, 0
	s_delay_alu instid0(SALU_CYCLE_1)
	s_mov_b32 s16, s17
	s_waitcnt lgkmcnt(0)
	s_max_i32 s20, s5, 1
	s_max_i32 s21, s4, 1
	s_add_u32 s8, s8, 8
	s_addc_u32 s9, s9, 0
	s_waitcnt vmcnt(0)
	scratch_store_b128 off, v[0:3], off offset:1664 ; 16-byte Folded Spill
	scratch_load_b128 v[0:3], off, off offset:144
	s_waitcnt vmcnt(0)
	scratch_store_b128 off, v[0:3], off offset:1680 ; 16-byte Folded Spill
	scratch_load_b128 v[0:3], off, off offset:160
	;; [unrolled: 3-line block ×74, first 2 shown]
	s_waitcnt vmcnt(0)
	scratch_store_b128 off, v[0:3], off offset:2900 ; 16-byte Folded Spill
.LBB5_27:                               ; =>This Loop Header: Depth=1
                                        ;     Child Loop BB5_28 Depth 2
	s_lshl_b64 s[0:1], s[16:17], 4
	s_mov_b32 s22, s20
	s_add_u32 s0, s10, s0
	s_addc_u32 s1, s11, s1
	s_mov_b64 s[18:19], s[8:9]
	global_load_b128 v[108:111], v4, s[0:1]
	s_clause 0x1
	scratch_load_b128 v[0:3], off, off offset:1328
	scratch_load_b128 v[4:7], off, off offset:1344
	s_waitcnt vmcnt(1)
	v_fma_f32 v0, v108, v0, v3
	s_delay_alu instid0(VALU_DEP_1) | instskip(NEXT) | instid1(VALU_DEP_1)
	v_fmac_f32_e32 v0, v109, v1
	v_fmac_f32_e32 v0, v110, v2
	scratch_store_b32 off, v0, off offset:1884 ; 4-byte Folded Spill
	s_waitcnt vmcnt(0)
	v_fma_f32 v0, v108, v4, v7
	s_delay_alu instid0(VALU_DEP_1) | instskip(NEXT) | instid1(VALU_DEP_1)
	v_fmac_f32_e32 v0, v109, v5
	v_fmac_f32_e32 v0, v110, v6
	scratch_store_b32 off, v0, off offset:1872 ; 4-byte Folded Spill
	s_clause 0x1
	scratch_load_b128 v[0:3], off, off offset:1360
	scratch_load_b128 v[4:7], off, off offset:1376
	s_waitcnt vmcnt(1)
	v_fma_f32 v0, v108, v0, v3
	s_delay_alu instid0(VALU_DEP_1) | instskip(NEXT) | instid1(VALU_DEP_1)
	v_fmac_f32_e32 v0, v109, v1
	v_fmac_f32_e32 v0, v110, v2
	scratch_store_b32 off, v0, off offset:1896 ; 4-byte Folded Spill
	s_waitcnt vmcnt(0)
	v_fma_f32 v0, v108, v4, v7
	s_delay_alu instid0(VALU_DEP_1) | instskip(NEXT) | instid1(VALU_DEP_1)
	v_fmac_f32_e32 v0, v109, v5
	v_fmac_f32_e32 v0, v110, v6
	scratch_store_b32 off, v0, off offset:1900 ; 4-byte Folded Spill
	;; [unrolled: 15-line block ×3, first 2 shown]
	s_clause 0x1
	scratch_load_b128 v[0:3], off, off offset:1424
	scratch_load_b128 v[4:7], off, off offset:1440
	s_waitcnt vmcnt(1)
	v_fma_f32 v107, v108, v0, v3
	s_waitcnt vmcnt(0)
	v_fma_f32 v0, v108, v4, v7
	s_delay_alu instid0(VALU_DEP_2) | instskip(NEXT) | instid1(VALU_DEP_1)
	v_fmac_f32_e32 v107, v109, v1
	v_dual_fmac_f32 v0, v109, v5 :: v_dual_fmac_f32 v107, v110, v2
	s_delay_alu instid0(VALU_DEP_1)
	v_fmac_f32_e32 v0, v110, v6
	scratch_store_b32 off, v0, off offset:1880 ; 4-byte Folded Spill
	s_clause 0x1
	scratch_load_b128 v[0:3], off, off offset:1456
	scratch_load_b128 v[4:7], off, off offset:1472
	s_waitcnt vmcnt(1)
	v_fma_f32 v190, v108, v0, v3
	s_waitcnt vmcnt(0)
	v_fma_f32 v0, v108, v4, v7
	s_delay_alu instid0(VALU_DEP_2) | instskip(NEXT) | instid1(VALU_DEP_2)
	v_fmac_f32_e32 v190, v109, v1
	v_fmac_f32_e32 v0, v109, v5
	s_delay_alu instid0(VALU_DEP_2) | instskip(NEXT) | instid1(VALU_DEP_2)
	v_fmac_f32_e32 v190, v110, v2
	v_fmac_f32_e32 v0, v110, v6
	scratch_store_b32 off, v0, off offset:1888 ; 4-byte Folded Spill
	s_clause 0x1
	scratch_load_b128 v[0:3], off, off offset:1488
	scratch_load_b128 v[4:7], off, off offset:1504
	s_waitcnt vmcnt(1)
	v_fma_f32 v0, v108, v0, v3
	s_waitcnt vmcnt(0)
	v_fma_f32 v12, v108, v4, v7
	s_delay_alu instid0(VALU_DEP_2) | instskip(NEXT) | instid1(VALU_DEP_2)
	v_fmac_f32_e32 v0, v109, v1
	v_fmac_f32_e32 v12, v109, v5
	s_delay_alu instid0(VALU_DEP_2) | instskip(NEXT) | instid1(VALU_DEP_2)
	v_fmac_f32_e32 v0, v110, v2
	v_fmac_f32_e32 v12, v110, v6
	scratch_store_b32 off, v0, off offset:1892 ; 4-byte Folded Spill
	s_clause 0x1
	scratch_load_b128 v[0:3], off, off offset:1520
	scratch_load_b128 v[4:7], off, off offset:1536
	s_waitcnt vmcnt(1)
	v_fma_f32 v0, v108, v0, v3
	s_waitcnt vmcnt(0)
	v_fma_f32 v9, v108, v4, v7
	s_delay_alu instid0(VALU_DEP_2) | instskip(NEXT) | instid1(VALU_DEP_1)
	v_fmac_f32_e32 v0, v109, v1
	v_dual_fmac_f32 v9, v109, v5 :: v_dual_fmac_f32 v0, v110, v2
	s_delay_alu instid0(VALU_DEP_1)
	v_fmac_f32_e32 v9, v110, v6
	scratch_store_b32 off, v0, off offset:1904 ; 4-byte Folded Spill
	s_clause 0x1
	scratch_load_b128 v[0:3], off, off offset:1552
	scratch_load_b128 v[4:7], off, off offset:1568
	s_waitcnt vmcnt(1)
	v_fma_f32 v0, v108, v0, v3
	s_waitcnt vmcnt(0)
	v_fma_f32 v10, v108, v4, v7
	s_delay_alu instid0(VALU_DEP_2) | instskip(NEXT) | instid1(VALU_DEP_2)
	v_fmac_f32_e32 v0, v109, v1
	v_fmac_f32_e32 v10, v109, v5
	s_delay_alu instid0(VALU_DEP_2) | instskip(NEXT) | instid1(VALU_DEP_2)
	v_fmac_f32_e32 v0, v110, v2
	v_fmac_f32_e32 v10, v110, v6
	scratch_store_b32 off, v0, off offset:1912 ; 4-byte Folded Spill
	s_clause 0x1
	scratch_load_b128 v[0:3], off, off offset:1584
	scratch_load_b128 v[4:7], off, off offset:1600
	s_waitcnt vmcnt(1)
	v_fma_f32 v28, v108, v0, v3
	s_waitcnt vmcnt(0)
	v_fma_f32 v11, v108, v4, v7
	s_delay_alu instid0(VALU_DEP_2) | instskip(NEXT) | instid1(VALU_DEP_1)
	v_fmac_f32_e32 v28, v109, v1
	v_dual_fmac_f32 v11, v109, v5 :: v_dual_fmac_f32 v28, v110, v2
	s_delay_alu instid0(VALU_DEP_1)
	v_fmac_f32_e32 v11, v110, v6
	s_clause 0xe
	scratch_load_b128 v[0:3], off, off offset:1616
	scratch_load_b128 v[4:7], off, off offset:1632
	;; [unrolled: 1-line block ×15, first 2 shown]
	s_waitcnt vmcnt(14)
	v_fma_f32 v191, v108, v0, v3
	s_waitcnt vmcnt(13)
	v_fma_f32 v4, v108, v4, v7
	s_delay_alu instid0(VALU_DEP_2) | instskip(NEXT) | instid1(VALU_DEP_2)
	v_fmac_f32_e32 v191, v109, v1
	v_fmac_f32_e32 v4, v109, v5
	s_waitcnt vmcnt(8)
	v_fma_f32 v20, v108, v127, v130
	s_waitcnt vmcnt(7)
	v_fma_f32 v22, v108, v120, v123
	v_fmac_f32_e32 v191, v110, v2
	scratch_load_b128 v[0:3], off, off offset:1648
	v_fmac_f32_e32 v4, v110, v6
	scratch_load_b128 v[5:8], off, off offset:1664 ; 16-byte Folded Reload
	v_fmac_f32_e32 v20, v109, v128
	scratch_load_b128 v[125:128], off, off offset:2004 ; 16-byte Folded Reload
	v_fmac_f32_e32 v22, v109, v121
	scratch_load_b128 v[118:121], off, off offset:2052 ; 16-byte Folded Reload
	s_waitcnt vmcnt(3)
	v_fma_f32 v0, v108, v0, v3
	s_waitcnt vmcnt(1)
	v_fma_f32 v21, v108, v125, v128
	s_delay_alu instid0(VALU_DEP_2) | instskip(SKIP_2) | instid1(VALU_DEP_3)
	v_dual_fmac_f32 v0, v109, v1 :: v_dual_mov_b32 v1, v111
	s_waitcnt vmcnt(0)
	v_fma_f32 v24, v108, v118, v121
	v_fmac_f32_e32 v21, v109, v126
	s_delay_alu instid0(VALU_DEP_3)
	v_fmac_f32_e32 v0, v110, v2
	v_ashrrev_i32_e32 v2, 31, v111
	scratch_load_b128 v[123:126], off, off offset:2036 ; 16-byte Folded Reload
	v_fmac_f32_e32 v24, v109, v119
	s_clause 0x1
	scratch_load_b128 v[116:119], off, off offset:2068
	scratch_load_b128 v[111:114], off, off offset:2084
	scratch_store_b64 off, v[1:2], off offset:1916 ; 8-byte Folded Spill
	v_fma_f32 v1, v108, v5, v8
	s_delay_alu instid0(VALU_DEP_1)
	v_fmac_f32_e32 v1, v109, v6
	scratch_load_b128 v[5:8], off, off offset:1680 ; 16-byte Folded Reload
	s_waitcnt vmcnt(3)
	v_fma_f32 v23, v108, v123, v126
	s_waitcnt vmcnt(2)
	v_fma_f32 v25, v108, v116, v119
	;; [unrolled: 2-line block ×3, first 2 shown]
	v_fma_f32 v111, v108, v100, v103
	scratch_load_b128 v[103:106], off, off offset:2164 ; 16-byte Folded Reload
	v_fmac_f32_e32 v23, v109, v124
	v_fmac_f32_e32 v25, v109, v117
	scratch_load_b128 v[114:117], off, off offset:2100 ; 16-byte Folded Reload
	v_fmac_f32_e32 v111, v109, v101
	s_waitcnt vmcnt(2)
	v_fma_f32 v2, v108, v5, v8
	s_delay_alu instid0(VALU_DEP_2) | instskip(NEXT) | instid1(VALU_DEP_2)
	v_fmac_f32_e32 v111, v110, v102
	v_fmac_f32_e32 v2, v109, v6
	scratch_load_b128 v[5:8], off, off offset:1696 ; 16-byte Folded Reload
	v_mov_b32_e32 v102, v111
	s_waitcnt vmcnt(1)
	v_fma_f32 v27, v108, v114, v117
	s_delay_alu instid0(VALU_DEP_1) | instskip(SKIP_2) | instid1(VALU_DEP_1)
	v_fmac_f32_e32 v27, v109, v115
	s_waitcnt vmcnt(0)
	v_fma_f32 v3, v108, v5, v8
	v_fmac_f32_e32 v3, v109, v6
	scratch_load_b128 v[5:8], off, off offset:1712 ; 16-byte Folded Reload
	s_waitcnt vmcnt(0)
	v_fma_f32 v5, v108, v5, v8
	s_delay_alu instid0(VALU_DEP_1) | instskip(SKIP_1) | instid1(VALU_DEP_1)
	v_fmac_f32_e32 v5, v109, v6
	v_fma_f32 v6, v108, v13, v16
	v_fmac_f32_e32 v6, v109, v14
	scratch_load_b128 v[13:16], off, off offset:1744 ; 16-byte Folded Reload
	s_waitcnt vmcnt(0)
	v_fma_f32 v7, v108, v13, v16
	s_delay_alu instid0(VALU_DEP_1) | instskip(SKIP_3) | instid1(VALU_DEP_1)
	v_fmac_f32_e32 v7, v109, v14
	scratch_load_b128 v[13:16], off, off offset:1760 ; 16-byte Folded Reload
	s_waitcnt vmcnt(0)
	v_fma_f32 v8, v108, v13, v16
	v_fmac_f32_e32 v8, v109, v14
	scratch_load_b128 v[13:16], off, off offset:1776 ; 16-byte Folded Reload
	s_waitcnt vmcnt(0)
	v_fma_f32 v13, v108, v13, v16
	s_delay_alu instid0(VALU_DEP_1) | instskip(SKIP_3) | instid1(VALU_DEP_1)
	v_fmac_f32_e32 v13, v109, v14
	scratch_load_b128 v[14:17], off, off offset:1792 ; 16-byte Folded Reload
	s_waitcnt vmcnt(0)
	;; [unrolled: 9-line block ×3, first 2 shown]
	v_fma_f32 v42, v108, v16, v19
	v_fmac_f32_e32 v42, v109, v17
	scratch_load_b128 v[16:19], off, off offset:1840 ; 16-byte Folded Reload
	s_waitcnt vmcnt(0)
	v_fma_f32 v43, v108, v16, v19
	s_delay_alu instid0(VALU_DEP_1)
	v_fmac_f32_e32 v43, v109, v17
	scratch_load_b128 v[16:19], off, off offset:1856 ; 16-byte Folded Reload
	s_waitcnt vmcnt(0)
	v_fma_f32 v18, v108, v133, v136
	scratch_load_b128 v[136:139], off, off offset:2116 ; 16-byte Folded Reload
	v_fmac_f32_e32 v18, v109, v134
	scratch_load_b128 v[131:134], off, off offset:1972 ; 16-byte Folded Reload
	v_fma_f32 v44, v108, v16, v19
	v_fma_f32 v16, v108, v141, v144
	scratch_load_b128 v[144:147], off, off offset:1940 ; 16-byte Folded Reload
	s_waitcnt vmcnt(2)
	v_fma_f32 v29, v108, v136, v139
	v_fmac_f32_e32 v44, v109, v17
	v_fmac_f32_e32 v16, v109, v142
	scratch_load_b128 v[139:142], off, off offset:2132 ; 16-byte Folded Reload
	v_fmac_f32_e32 v26, v109, v112
	v_fma_f32 v112, v108, v103, v106
	v_fmac_f32_e32 v29, v109, v137
	s_waitcnt vmcnt(2)
	v_fma_f32 v19, v108, v131, v134
	s_delay_alu instid0(VALU_DEP_1)
	v_fmac_f32_e32 v19, v109, v132
	s_waitcnt vmcnt(1)
	v_fma_f32 v17, v108, v144, v147
	scratch_load_b128 v[147:150], off, off offset:2180 ; 16-byte Folded Reload
	s_waitcnt vmcnt(1)
	v_fma_f32 v30, v108, v139, v142
	v_fmac_f32_e32 v17, v109, v145
	s_delay_alu instid0(VALU_DEP_2) | instskip(SKIP_4) | instid1(VALU_DEP_1)
	v_fmac_f32_e32 v30, v109, v140
	s_waitcnt vmcnt(0)
	v_fma_f32 v114, v108, v147, v150
	scratch_load_b128 v[150:153], off, off offset:2196 ; 16-byte Folded Reload
	v_fmac_f32_e32 v114, v109, v148
	v_fmac_f32_e32 v114, v110, v149
	;; [unrolled: 1-line block ×3, first 2 shown]
	v_fma_f32 v104, v108, v92, v95
	scratch_load_b128 v[95:98], off, off offset:2612 ; 16-byte Folded Reload
	v_fmac_f32_e32 v104, v109, v93
	scratch_load_b128 v[90:93], off, off offset:2420 ; 16-byte Folded Reload
	s_waitcnt vmcnt(2)
	v_fma_f32 v115, v108, v150, v153
	scratch_load_b128 v[153:156], off, off offset:2212 ; 16-byte Folded Reload
	v_fma_f32 v150, v108, v66, v69
	scratch_load_b128 v[69:72], off, off offset:2836 ; 16-byte Folded Reload
	v_fmac_f32_e32 v115, v109, v151
	v_fma_f32 v151, v108, v77, v80
	scratch_load_b128 v[80:83], off, off offset:2516 ; 16-byte Folded Reload
	v_dual_fmac_f32 v150, v109, v67 :: v_dual_fmac_f32 v115, v110, v152
	v_fmac_f32_e32 v151, v109, v78
	v_fma_f32 v78, v108, v60, v63
	scratch_load_b128 v[63:66], off, off offset:2580 ; 16-byte Folded Reload
	v_mov_b32_e32 v152, v115
	v_fmac_f32_e32 v78, v109, v61
	s_waitcnt vmcnt(3)
	v_fma_f32 v117, v108, v153, v156
	scratch_load_b128 v[156:159], off, off offset:2228 ; 16-byte Folded Reload
	v_fmac_f32_e32 v117, v109, v154
	v_fma_f32 v154, v108, v73, v76
	s_waitcnt vmcnt(1)
	v_fma_f32 v67, v108, v63, v66
	v_mov_b32_e32 v66, v15
	s_waitcnt vmcnt(0)
	v_fma_f32 v119, v108, v156, v159
	scratch_load_b128 v[159:162], off, off offset:2244 ; 16-byte Folded Reload
	v_fma_f32 v156, v108, v80, v83
	v_fmac_f32_e32 v119, v109, v157
	v_fma_f32 v157, v108, v55, v58
	scratch_load_b128 v[58:61], off, off offset:2564 ; 16-byte Folded Reload
	v_fmac_f32_e32 v156, v109, v81
	v_mov_b32_e32 v81, v17
	v_fmac_f32_e32 v119, v110, v158
	v_fmac_f32_e32 v157, v109, v56
	scratch_load_b128 v[53:56], off, off offset:2676 ; 16-byte Folded Reload
	v_fma_f32 v77, v108, v45, v48
	scratch_load_b128 v[48:51], off, off offset:2660 ; 16-byte Folded Reload
	v_fmac_f32_e32 v77, v109, v46
	s_waitcnt vmcnt(3)
	v_fma_f32 v121, v108, v159, v162
	scratch_load_b128 v[162:165], off, off offset:2260 ; 16-byte Folded Reload
	v_fmac_f32_e32 v121, v109, v160
	s_waitcnt vmcnt(3)
	v_fma_f32 v159, v108, v58, v61
	s_delay_alu instid0(VALU_DEP_2) | instskip(NEXT) | instid1(VALU_DEP_1)
	v_dual_fmac_f32 v121, v110, v161 :: v_dual_mov_b32 v158, v119
	v_mov_b32_e32 v161, v121
	s_waitcnt vmcnt(0)
	v_fma_f32 v160, v108, v162, v165
	scratch_load_b128 v[165:168], off, off offset:2276 ; 16-byte Folded Reload
	v_fmac_f32_e32 v160, v109, v163
	s_delay_alu instid0(VALU_DEP_1)
	v_fmac_f32_e32 v160, v110, v164
	s_waitcnt vmcnt(0)
	v_fma_f32 v162, v108, v165, v168
	scratch_load_b128 v[168:171], off, off offset:2292 ; 16-byte Folded Reload
	s_waitcnt vmcnt(0)
	v_fma_f32 v163, v108, v168, v171
	scratch_load_b128 v[171:174], off, off offset:2308 ; 16-byte Folded Reload
	v_fmac_f32_e32 v163, v109, v169
	s_delay_alu instid0(VALU_DEP_1)
	v_fmac_f32_e32 v163, v110, v170
	v_fmac_f32_e32 v104, v110, v94
	s_waitcnt vmcnt(0)
	v_fma_f32 v165, v108, v171, v174
	scratch_load_b128 v[174:177], off, off offset:2324 ; 16-byte Folded Reload
	v_fmac_f32_e32 v165, v109, v172
	v_fma_f32 v172, v108, v90, v93
	s_delay_alu instid0(VALU_DEP_1)
	v_fmac_f32_e32 v172, v109, v91
	scratch_load_b128 v[88:91], off, off offset:2436 ; 16-byte Folded Reload
	s_waitcnt vmcnt(0)
	v_fma_f32 v148, v108, v88, v91
	scratch_load_b128 v[85:88], off, off offset:2452 ; 16-byte Folded Reload
	v_dual_mov_b32 v91, v23 :: v_dual_fmac_f32 v148, v109, v89
	s_delay_alu instid0(VALU_DEP_1) | instskip(NEXT) | instid1(VALU_DEP_1)
	v_dual_fmac_f32 v91, v110, v125 :: v_dual_mov_b32 v80, v16
	v_dual_fmac_f32 v67, v109, v64 :: v_dual_fmac_f32 v80, v110, v143
	s_delay_alu instid0(VALU_DEP_1) | instskip(SKIP_2) | instid1(VALU_DEP_1)
	v_fmac_f32_e32 v67, v110, v65
	s_waitcnt vmcnt(0)
	v_fma_f32 v153, v108, v85, v88
	v_fmac_f32_e32 v153, v109, v86
	v_fmac_f32_e32 v154, v109, v74
	scratch_load_b128 v[83:86], off, off offset:2596 ; 16-byte Folded Reload
	v_fma_f32 v74, v108, v95, v98
	scratch_load_b128 v[98:101], off, off offset:2628 ; 16-byte Folded Reload
	v_mov_b32_e32 v95, v25
	s_delay_alu instid0(VALU_DEP_1) | instskip(SKIP_1) | instid1(VALU_DEP_1)
	v_dual_fmac_f32 v74, v109, v96 :: v_dual_fmac_f32 v95, v110, v118
	v_mov_b32_e32 v89, v22
	v_fmac_f32_e32 v89, v110, v122
	s_waitcnt vmcnt(1)
	v_fma_f32 v73, v108, v83, v86
	v_mov_b32_e32 v86, v20
	s_waitcnt vmcnt(0)
	v_fma_f32 v76, v108, v98, v101
	v_dual_mov_b32 v101, v30 :: v_dual_mov_b32 v98, v27
	v_fmac_f32_e32 v73, v109, v84
	v_mov_b32_e32 v88, v21
	s_delay_alu instid0(VALU_DEP_4)
	v_fmac_f32_e32 v76, v109, v99
	v_mov_b32_e32 v99, v29
	scratch_load_b128 v[29:32], off, off offset:2692 ; 16-byte Folded Reload
	v_fma_f32 v46, v108, v48, v51
	v_fma_f32 v48, v108, v53, v56
	v_fmac_f32_e32 v101, v110, v141
	v_mov_b32_e32 v96, v26
	v_fmac_f32_e32 v99, v110, v138
	s_delay_alu instid0(VALU_DEP_4)
	v_dual_mov_b32 v93, v24 :: v_dual_fmac_f32 v48, v109, v54
	s_clause 0x1
	scratch_load_b128 v[51:54], off, off offset:2708
	scratch_load_b128 v[24:27], off, off offset:2724
	v_fmac_f32_e32 v46, v109, v49
	scratch_load_b128 v[20:23], off, off offset:2756 ; 16-byte Folded Reload
	v_dual_mov_b32 v84, v19 :: v_dual_fmac_f32 v93, v110, v120
	v_mov_b32_e32 v83, v18
	scratch_load_b128 v[16:19], off, off offset:2788 ; 16-byte Folded Reload
	v_dual_fmac_f32 v159, v109, v59 :: v_dual_fmac_f32 v86, v110, v129
	v_fmac_f32_e32 v98, v110, v116
	v_fmac_f32_e32 v83, v110, v135
	;; [unrolled: 1-line block ×5, first 2 shown]
	s_waitcnt vmcnt(4)
	v_fma_f32 v29, v108, v29, v32
	scratch_load_b128 v[32:35], off, off offset:2740 ; 16-byte Folded Reload
	s_waitcnt vmcnt(4)
	v_fma_f32 v49, v108, v51, v54
	s_waitcnt vmcnt(3)
	v_fma_f32 v24, v108, v24, v27
	v_mov_b32_e32 v51, v13
	s_waitcnt vmcnt(2)
	v_fma_f32 v20, v108, v20, v23
	v_mov_b32_e32 v27, v10
	v_dual_fmac_f32 v49, v109, v52 :: v_dual_mov_b32 v52, v14
	v_fmac_f32_e32 v29, v109, v30
	v_fmac_f32_e32 v24, v109, v25
	;; [unrolled: 1-line block ×3, first 2 shown]
	s_waitcnt vmcnt(1)
	v_fma_f32 v16, v108, v16, v19
	v_mov_b32_e32 v19, v12
	scratch_load_b128 v[12:15], off, off offset:2820 ; 16-byte Folded Reload
	v_mov_b32_e32 v30, v11
	v_dual_fmac_f32 v162, v109, v166 :: v_dual_fmac_f32 v117, v110, v155
	v_fmac_f32_e32 v20, v110, v22
	v_fmac_f32_e32 v24, v110, v26
	;; [unrolled: 1-line block ×3, first 2 shown]
	s_delay_alu instid0(VALU_DEP_4) | instskip(SKIP_3) | instid1(VALU_DEP_2)
	v_dual_fmac_f32 v162, v110, v167 :: v_dual_mov_b32 v155, v117
	v_mov_b32_e32 v149, v114
	v_fmac_f32_e32 v112, v110, v105
	v_fmac_f32_e32 v165, v110, v173
	v_dual_fmac_f32 v172, v110, v92 :: v_dual_mov_b32 v105, v112
	s_waitcnt vmcnt(1)
	v_fma_f32 v25, v108, v32, v35
	scratch_load_b128 v[35:38], off, off offset:2772 ; 16-byte Folded Reload
	v_dual_mov_b32 v32, v4 :: v_dual_fmac_f32 v153, v110, v87
	v_fmac_f32_e32 v154, v110, v75
	s_waitcnt vmcnt(1)
	v_fma_f32 v12, v108, v12, v15
	s_delay_alu instid0(VALU_DEP_1) | instskip(SKIP_4) | instid1(VALU_DEP_4)
	v_fmac_f32_e32 v12, v109, v13
	v_fma_f32 v13, v108, v69, v72
	v_dual_mov_b32 v72, v44 :: v_dual_mov_b32 v23, v9
	v_fmac_f32_e32 v151, v110, v79
	v_fmac_f32_e32 v156, v110, v82
	v_dual_fmac_f32 v13, v109, v70 :: v_dual_mov_b32 v70, v43
	v_fmac_f32_e32 v81, v110, v146
	v_mov_b32_e32 v69, v42
	v_fmac_f32_e32 v25, v109, v33
	v_mov_b32_e32 v33, v0
	v_fmac_f32_e32 v13, v110, v71
	v_fmac_f32_e32 v12, v110, v14
	s_waitcnt vmcnt(0)
	v_fma_f32 v21, v108, v35, v38
	scratch_load_b128 v[38:41], off, off offset:2804 ; 16-byte Folded Reload
	v_fmac_f32_e32 v16, v109, v17
	v_mov_b32_e32 v35, v1
	s_waitcnt vmcnt(0)
	v_fma_f32 v17, v108, v38, v41
	scratch_load_b128 v[41:44], off, off offset:2852 ; 16-byte Folded Reload
	v_dual_mov_b32 v38, v3 :: v_dual_fmac_f32 v17, v109, v39
	v_mov_b32_e32 v39, v5
	s_delay_alu instid0(VALU_DEP_2)
	v_fmac_f32_e32 v17, v110, v40
	v_fmac_f32_e32 v16, v110, v18
	s_waitcnt vmcnt(0)
	v_fma_f32 v15, v108, v41, v44
	v_dual_mov_b32 v41, v6 :: v_dual_mov_b32 v44, v8
	scratch_load_b128 v[8:11], off, off offset:2868 ; 16-byte Folded Reload
	v_fmac_f32_e32 v157, v110, v57
	v_dual_fmac_f32 v15, v109, v42 :: v_dual_mov_b32 v42, v7
	scratch_load_b128 v[4:7], off, off offset:2884 ; 16-byte Folded Reload
	v_fmac_f32_e32 v159, v110, v60
	v_fmac_f32_e32 v78, v110, v62
	;; [unrolled: 1-line block ×4, first 2 shown]
	s_waitcnt vmcnt(1)
	v_fma_f32 v8, v108, v8, v11
	s_waitcnt vmcnt(0)
	v_fma_f32 v45, v108, v4, v7
	scratch_load_b32 v7, off, off offset:1908 ; 4-byte Folded Reload
	v_fma_f32 v166, v108, v174, v177
	scratch_load_b128 v[177:180], off, off offset:2340 ; 16-byte Folded Reload
	v_fmac_f32_e32 v8, v109, v9
	v_fmac_f32_e32 v45, v109, v5
	v_dual_mov_b32 v9, v107 :: v_dual_fmac_f32 v166, v109, v175
	v_mov_b32_e32 v4, 0
	s_delay_alu instid0(VALU_DEP_4)
	v_fmac_f32_e32 v8, v110, v10
	v_fmac_f32_e32 v73, v110, v85
	;; [unrolled: 1-line block ×5, first 2 shown]
	s_waitcnt vmcnt(0)
	v_fma_f32 v168, v108, v177, v180
	scratch_load_b128 v[180:183], off, off offset:2356 ; 16-byte Folded Reload
	v_fmac_f32_e32 v168, v109, v178
	s_delay_alu instid0(VALU_DEP_1)
	v_fmac_f32_e32 v168, v110, v179
	s_waitcnt vmcnt(0)
	v_fma_f32 v169, v108, v180, v183
	scratch_load_b128 v[183:186], off, off offset:2372 ; 16-byte Folded Reload
	v_fmac_f32_e32 v169, v109, v181
	s_waitcnt vmcnt(0)
	v_fma_f32 v171, v108, v183, v186
	scratch_load_b128 v[186:189], off, off offset:2388 ; 16-byte Folded Reload
	v_fmac_f32_e32 v171, v109, v184
	s_delay_alu instid0(VALU_DEP_1)
	v_fmac_f32_e32 v171, v110, v185
	v_dual_fmac_f32 v21, v109, v36 :: v_dual_fmac_f32 v88, v110, v127
	v_mov_b32_e32 v36, v2
	s_clause 0x1
	scratch_load_b32 v5, off, off offset:1900
	scratch_load_b128 v[0:3], off, off offset:2900
	v_fmac_f32_e32 v169, v110, v182
	v_fmac_f32_e32 v148, v110, v90
	;; [unrolled: 1-line block ×3, first 2 shown]
	s_waitcnt vmcnt(2)
	v_fma_f32 v103, v108, v186, v189
	s_delay_alu instid0(VALU_DEP_1)
	v_fmac_f32_e32 v103, v109, v187
	s_waitcnt vmcnt(0)
	v_fma_f32 v0, v108, v0, v3
	scratch_load_b32 v3, off, off offset:1896 ; 4-byte Folded Reload
	v_fmac_f32_e32 v0, v109, v1
	s_clause 0x4
	scratch_load_b32 v1, off, off offset:1884
	scratch_load_b128 v[106:109], off, off offset:1664
	scratch_load_b32 v6, off, off offset:1876
	scratch_load_b32 v10, off, off offset:1880
	;; [unrolled: 1-line block ×3, first 2 shown]
	v_fmac_f32_e32 v0, v110, v2
	s_clause 0x2
	scratch_load_b32 v18, off, off offset:1892
	scratch_load_b32 v22, off, off offset:1904
	;; [unrolled: 1-line block ×3, first 2 shown]
	s_waitcnt vmcnt(6)
	v_fmac_f32_e32 v35, v110, v108
	scratch_load_b128 v[106:109], off, off offset:1680 ; 16-byte Folded Reload
	s_waitcnt vmcnt(0)
	v_fmac_f32_e32 v36, v110, v108
	scratch_load_b128 v[106:109], off, off offset:1696 ; 16-byte Folded Reload
	v_fmac_f32_e32 v103, v110, v188
	v_fmac_f32_e32 v150, v110, v68
	s_waitcnt vmcnt(0)
	v_fmac_f32_e32 v38, v110, v108
	scratch_load_b128 v[106:109], off, off offset:1712 ; 16-byte Folded Reload
	s_waitcnt vmcnt(0)
	v_fmac_f32_e32 v39, v110, v108
	scratch_load_b128 v[106:109], off, off offset:1728 ; 16-byte Folded Reload
	;; [unrolled: 3-line block ×5, first 2 shown]
	v_fmac_f32_e32 v77, v110, v47
	v_fmac_f32_e32 v46, v110, v50
	s_waitcnt vmcnt(0)
	v_fmac_f32_e32 v51, v110, v108
	scratch_load_b128 v[106:109], off, off offset:1792 ; 16-byte Folded Reload
	s_waitcnt vmcnt(0)
	v_fmac_f32_e32 v52, v110, v108
	scratch_load_b128 v[106:109], off, off offset:1808 ; 16-byte Folded Reload
	v_fmac_f32_e32 v29, v110, v31
	s_waitcnt vmcnt(0)
	v_fmac_f32_e32 v66, v110, v108
	scratch_load_b128 v[106:109], off, off offset:1824 ; 16-byte Folded Reload
	s_waitcnt vmcnt(0)
	v_fmac_f32_e32 v69, v110, v108
	scratch_load_b128 v[106:109], off, off offset:1840 ; 16-byte Folded Reload
	s_waitcnt vmcnt(0)
	v_fmac_f32_e32 v70, v110, v108
	s_clause 0x2
	scratch_load_b128 v[106:109], off, off offset:1856
	scratch_load_b32 v2, off, off offset:1872
	scratch_load_b64 v[53:54], off, off offset:1916
	v_fmac_f32_e32 v25, v110, v34
	s_waitcnt vmcnt(2)
	v_fmac_f32_e32 v72, v110, v108
	s_waitcnt vmcnt(0)
	v_lshlrev_b64 v[53:54], 4, v[53:54]
	s_delay_alu instid0(VALU_DEP_1) | instskip(NEXT) | instid1(VALU_DEP_2)
	v_add_co_u32 v53, vcc_lo, s14, v53
	v_add_co_ci_u32_e32 v54, vcc_lo, s15, v54, vcc_lo
	global_load_b128 v[140:143], v[53:54], off
	s_clause 0x7
	scratch_load_b128 v[128:131], off, off
	scratch_load_b128 v[124:127], off, off offset:16
	scratch_load_b128 v[120:123], off, off offset:32
	;; [unrolled: 1-line block ×7, first 2 shown]
	s_waitcnt vmcnt(8)
	v_cmp_gt_f32_e64 s0, 0, v142
	v_cmp_lt_f32_e64 s1, 0, v142
	v_cmp_eq_u32_e64 s3, 0x46, v140
	v_cmp_eq_u32_e64 s4, 0x45, v140
	s_delay_alu instid0(VALU_DEP_4)
	v_cndmask_b32_e64 v53, 1.0, 0x40b00000, s0
	v_cndmask_b32_e64 v54, 0xff7fffff, 1.0, s0
.LBB5_28:                               ;   Parent Loop BB5_27 Depth=1
                                        ; =>  This Inner Loop Header: Depth=2
	global_load_b128 v[144:147], v4, s[18:19] offset:-8
	s_waitcnt vmcnt(0)
	v_ashrrev_i32_e32 v56, 31, v147
	v_mov_b32_e32 v55, v147
	s_delay_alu instid0(VALU_DEP_1) | instskip(NEXT) | instid1(VALU_DEP_1)
	v_lshlrev_b64 v[55:56], 4, v[55:56]
	v_add_co_u32 v55, vcc_lo, s14, v55
	s_delay_alu instid0(VALU_DEP_2) | instskip(SKIP_4) | instid1(VALU_DEP_2)
	v_add_co_ci_u32_e32 v56, vcc_lo, s15, v56, vcc_lo
	global_load_b128 v[59:62], v[55:56], off
	s_waitcnt vmcnt(0)
	v_add_f32_e32 v60, v141, v60
	v_cmp_lt_f32_e64 s6, 0, v61
	v_div_scale_f32 v55, null, v60, v60, 1.0
	s_delay_alu instid0(VALU_DEP_2) | instskip(NEXT) | instid1(VALU_DEP_1)
	s_and_b32 s6, s6, s0
	v_rcp_f32_e32 v56, v55
	s_waitcnt_depctr 0xfff
	v_fma_f32 v57, -v55, v56, 1.0
	s_delay_alu instid0(VALU_DEP_1) | instskip(SKIP_1) | instid1(VALU_DEP_1)
	v_fmac_f32_e32 v56, v57, v56
	v_div_scale_f32 v57, vcc_lo, 1.0, v60, 1.0
	v_mul_f32_e32 v58, v57, v56
	s_delay_alu instid0(VALU_DEP_1) | instskip(NEXT) | instid1(VALU_DEP_1)
	v_fma_f32 v63, -v55, v58, v57
	v_fmac_f32_e32 v58, v63, v56
	s_delay_alu instid0(VALU_DEP_1) | instskip(NEXT) | instid1(VALU_DEP_1)
	v_fma_f32 v55, -v55, v58, v57
	v_div_fmas_f32 v55, v55, v56, v58
	v_cmp_eq_u32_e32 vcc_lo, 0x46, v59
	s_delay_alu instid0(VALU_DEP_2)
	v_div_fixup_f32 v57, v55, v60, 1.0
	s_and_b32 s5, vcc_lo, s3
	v_cmp_eq_u32_e32 vcc_lo, 0x45, v59
	v_cndmask_b32_e64 v147, 2.0, 4.0, s5
	v_cndmask_b32_e64 v56, 0.5, 0x3e800000, s5
	v_cmp_neq_f32_e64 s5, 0, v61
	s_or_b32 s23, vcc_lo, s4
	v_cmp_gt_f32_e32 vcc_lo, 0, v61
	s_and_b32 s24, vcc_lo, s1
	v_cndmask_b32_e32 v140, v54, v53, vcc_lo
	v_cndmask_b32_e64 v55, v61, -v61, s24
	v_cndmask_b32_e64 v61, v142, -v142, s6
	s_delay_alu instid0(VALU_DEP_1) | instskip(SKIP_2) | instid1(VALU_DEP_1)
	v_add_f32_e32 v55, v55, v61
	v_sub_f32_e32 v61, v35, v144
	v_div_scale_f32 v58, null, v140, v140, 1.0
	v_rcp_f32_e32 v59, v58
	s_waitcnt_depctr 0xfff
	v_fma_f32 v63, -v58, v59, 1.0
	s_delay_alu instid0(VALU_DEP_1) | instskip(SKIP_1) | instid1(VALU_DEP_1)
	v_fmac_f32_e32 v59, v63, v59
	v_div_scale_f32 v63, vcc_lo, 1.0, v140, 1.0
	v_mul_f32_e32 v64, v63, v59
	s_delay_alu instid0(VALU_DEP_1) | instskip(NEXT) | instid1(VALU_DEP_1)
	v_fma_f32 v65, -v58, v64, v63
	v_fmac_f32_e32 v64, v65, v59
	s_delay_alu instid0(VALU_DEP_1) | instskip(SKIP_1) | instid1(VALU_DEP_2)
	v_fma_f32 v58, -v58, v64, v63
	v_sub_f32_e32 v63, v38, v146
	v_div_fmas_f32 v58, v58, v59, v64
	v_dual_mul_f32 v59, v143, v62 :: v_dual_sub_f32 v62, v36, v145
	s_delay_alu instid0(VALU_DEP_2) | instskip(NEXT) | instid1(VALU_DEP_2)
	v_div_fixup_f32 v58, v58, v140, 1.0
	v_mul_f32_e32 v62, v62, v62
	s_delay_alu instid0(VALU_DEP_1) | instskip(NEXT) | instid1(VALU_DEP_1)
	v_fmac_f32_e32 v62, v61, v61
	v_fmac_f32_e32 v62, v63, v63
	s_delay_alu instid0(VALU_DEP_1) | instskip(SKIP_1) | instid1(VALU_DEP_1)
	v_cmp_gt_f32_e32 vcc_lo, 0xf800000, v62
	v_mul_f32_e32 v61, 0x4f800000, v62
	v_cndmask_b32_e32 v61, v62, v61, vcc_lo
	s_delay_alu instid0(VALU_DEP_1) | instskip(SKIP_2) | instid1(VALU_DEP_1)
	v_sqrt_f32_e32 v62, v61
	s_waitcnt_depctr 0xfff
	v_add_nc_u32_e32 v63, -1, v62
	v_fma_f32 v64, -v63, v62, v61
	s_delay_alu instid0(VALU_DEP_1) | instskip(SKIP_1) | instid1(VALU_DEP_2)
	v_cmp_ge_f32_e64 s6, 0, v64
	v_add_nc_u32_e32 v64, 1, v62
	v_cndmask_b32_e64 v63, v62, v63, s6
	s_delay_alu instid0(VALU_DEP_2) | instskip(NEXT) | instid1(VALU_DEP_1)
	v_fma_f32 v62, -v64, v62, v61
	v_cmp_lt_f32_e64 s6, 0, v62
	s_delay_alu instid0(VALU_DEP_1) | instskip(NEXT) | instid1(VALU_DEP_1)
	v_cndmask_b32_e64 v62, v63, v64, s6
	v_mul_f32_e32 v63, 0x37800000, v62
	s_delay_alu instid0(VALU_DEP_1) | instskip(SKIP_1) | instid1(VALU_DEP_2)
	v_cndmask_b32_e32 v62, v62, v63, vcc_lo
	v_cmp_class_f32_e64 vcc_lo, v61, 0x260
	v_cndmask_b32_e32 v61, v62, v61, vcc_lo
	s_delay_alu instid0(VALU_DEP_1) | instskip(SKIP_1) | instid1(VALU_DEP_2)
	v_sub_f32_e32 v62, v61, v60
	v_fma_f32 v61, -v57, v61, 1.0
	v_cmp_gt_f32_e32 vcc_lo, 0, v62
	v_cmp_lt_f32_e64 s6, v62, v147
	v_cndmask_b32_e64 v63, 0, 0x42980000, vcc_lo
	s_delay_alu instid0(VALU_DEP_1) | instskip(SKIP_1) | instid1(VALU_DEP_4)
	v_fmac_f32_e32 v128, v61, v63
	v_fma_f32 v61, -v56, v62, 1.0
	v_cndmask_b32_e64 v63, 0, 1.0, s6
	v_cmp_lt_f32_e64 s6, v62, v140
	s_delay_alu instid0(VALU_DEP_3) | instskip(NEXT) | instid1(VALU_DEP_2)
	v_cndmask_b32_e64 v61, v61, 1.0, vcc_lo
	s_and_b32 s6, s5, s6
	s_delay_alu instid0(VALU_DEP_1) | instskip(SKIP_1) | instid1(VALU_DEP_2)
	v_mul_f32_e32 v61, v63, v61
	v_sub_f32_e32 v63, v42, v146
	v_mul_f32_e32 v61, v59, v61
	s_delay_alu instid0(VALU_DEP_1) | instskip(NEXT) | instid1(VALU_DEP_1)
	v_cndmask_b32_e64 v61, v61, -|v61|, s23
	v_fmac_f32_e32 v128, 0x42340000, v61
	v_fma_f32 v61, -v58, v62, 1.0
	v_cndmask_b32_e64 v62, 0, 1.0, s6
	s_delay_alu instid0(VALU_DEP_2) | instskip(NEXT) | instid1(VALU_DEP_2)
	v_cndmask_b32_e64 v61, v61, 1.0, vcc_lo
	v_mul_f32_e32 v62, v55, v62
	s_delay_alu instid0(VALU_DEP_1) | instskip(SKIP_1) | instid1(VALU_DEP_1)
	v_fmac_f32_e32 v128, v61, v62
	v_dual_sub_f32 v62, v41, v145 :: v_dual_sub_f32 v61, v39, v144
	v_mul_f32_e32 v62, v62, v62
	s_delay_alu instid0(VALU_DEP_1) | instskip(NEXT) | instid1(VALU_DEP_1)
	v_fmac_f32_e32 v62, v61, v61
	v_fmac_f32_e32 v62, v63, v63
	s_delay_alu instid0(VALU_DEP_1) | instskip(SKIP_1) | instid1(VALU_DEP_1)
	v_cmp_gt_f32_e32 vcc_lo, 0xf800000, v62
	v_mul_f32_e32 v61, 0x4f800000, v62
	v_cndmask_b32_e32 v61, v62, v61, vcc_lo
	s_delay_alu instid0(VALU_DEP_1) | instskip(SKIP_2) | instid1(VALU_DEP_1)
	v_sqrt_f32_e32 v62, v61
	s_waitcnt_depctr 0xfff
	v_add_nc_u32_e32 v63, -1, v62
	v_fma_f32 v64, -v63, v62, v61
	s_delay_alu instid0(VALU_DEP_1) | instskip(SKIP_1) | instid1(VALU_DEP_2)
	v_cmp_ge_f32_e64 s6, 0, v64
	v_add_nc_u32_e32 v64, 1, v62
	v_cndmask_b32_e64 v63, v62, v63, s6
	s_delay_alu instid0(VALU_DEP_2) | instskip(NEXT) | instid1(VALU_DEP_1)
	v_fma_f32 v62, -v64, v62, v61
	v_cmp_lt_f32_e64 s6, 0, v62
	s_delay_alu instid0(VALU_DEP_1) | instskip(NEXT) | instid1(VALU_DEP_1)
	v_cndmask_b32_e64 v62, v63, v64, s6
	v_mul_f32_e32 v63, 0x37800000, v62
	s_delay_alu instid0(VALU_DEP_1) | instskip(SKIP_1) | instid1(VALU_DEP_2)
	v_cndmask_b32_e32 v62, v62, v63, vcc_lo
	v_cmp_class_f32_e64 vcc_lo, v61, 0x260
	v_cndmask_b32_e32 v61, v62, v61, vcc_lo
	s_delay_alu instid0(VALU_DEP_1) | instskip(SKIP_1) | instid1(VALU_DEP_2)
	v_sub_f32_e32 v62, v61, v60
	v_fma_f32 v61, -v57, v61, 1.0
	v_cmp_gt_f32_e32 vcc_lo, 0, v62
	v_cmp_lt_f32_e64 s6, v62, v147
	v_cndmask_b32_e64 v63, 0, 0x42980000, vcc_lo
	s_delay_alu instid0(VALU_DEP_1) | instskip(SKIP_1) | instid1(VALU_DEP_4)
	v_fmac_f32_e32 v129, v61, v63
	v_fma_f32 v61, -v56, v62, 1.0
	v_cndmask_b32_e64 v63, 0, 1.0, s6
	v_cmp_lt_f32_e64 s6, v62, v140
	s_delay_alu instid0(VALU_DEP_3) | instskip(NEXT) | instid1(VALU_DEP_2)
	v_cndmask_b32_e64 v61, v61, 1.0, vcc_lo
	s_and_b32 s6, s5, s6
	s_delay_alu instid0(VALU_DEP_1) | instskip(SKIP_1) | instid1(VALU_DEP_2)
	v_mul_f32_e32 v61, v63, v61
	v_sub_f32_e32 v63, v52, v146
	v_mul_f32_e32 v61, v59, v61
	s_delay_alu instid0(VALU_DEP_1) | instskip(NEXT) | instid1(VALU_DEP_1)
	v_cndmask_b32_e64 v61, v61, -|v61|, s23
	v_fmac_f32_e32 v129, 0x42340000, v61
	v_fma_f32 v61, -v58, v62, 1.0
	v_cndmask_b32_e64 v62, 0, 1.0, s6
	s_delay_alu instid0(VALU_DEP_2) | instskip(NEXT) | instid1(VALU_DEP_2)
	v_cndmask_b32_e64 v61, v61, 1.0, vcc_lo
	v_mul_f32_e32 v62, v55, v62
	s_delay_alu instid0(VALU_DEP_1) | instskip(NEXT) | instid1(VALU_DEP_1)
	v_dual_fmac_f32 v129, v61, v62 :: v_dual_sub_f32 v62, v51, v145
	v_dual_sub_f32 v61, v44, v144 :: v_dual_mul_f32 v62, v62, v62
	s_delay_alu instid0(VALU_DEP_1) | instskip(NEXT) | instid1(VALU_DEP_1)
	v_fmac_f32_e32 v62, v61, v61
	v_fmac_f32_e32 v62, v63, v63
	s_delay_alu instid0(VALU_DEP_1) | instskip(SKIP_1) | instid1(VALU_DEP_1)
	v_cmp_gt_f32_e32 vcc_lo, 0xf800000, v62
	v_mul_f32_e32 v61, 0x4f800000, v62
	v_cndmask_b32_e32 v61, v62, v61, vcc_lo
	s_delay_alu instid0(VALU_DEP_1) | instskip(SKIP_2) | instid1(VALU_DEP_1)
	v_sqrt_f32_e32 v62, v61
	s_waitcnt_depctr 0xfff
	v_add_nc_u32_e32 v63, -1, v62
	v_fma_f32 v64, -v63, v62, v61
	s_delay_alu instid0(VALU_DEP_1) | instskip(SKIP_1) | instid1(VALU_DEP_2)
	v_cmp_ge_f32_e64 s6, 0, v64
	v_add_nc_u32_e32 v64, 1, v62
	v_cndmask_b32_e64 v63, v62, v63, s6
	s_delay_alu instid0(VALU_DEP_2) | instskip(NEXT) | instid1(VALU_DEP_1)
	v_fma_f32 v62, -v64, v62, v61
	v_cmp_lt_f32_e64 s6, 0, v62
	s_delay_alu instid0(VALU_DEP_1) | instskip(NEXT) | instid1(VALU_DEP_1)
	v_cndmask_b32_e64 v62, v63, v64, s6
	v_mul_f32_e32 v63, 0x37800000, v62
	s_delay_alu instid0(VALU_DEP_1) | instskip(SKIP_1) | instid1(VALU_DEP_2)
	v_cndmask_b32_e32 v62, v62, v63, vcc_lo
	v_cmp_class_f32_e64 vcc_lo, v61, 0x260
	v_cndmask_b32_e32 v61, v62, v61, vcc_lo
	s_delay_alu instid0(VALU_DEP_1) | instskip(SKIP_1) | instid1(VALU_DEP_2)
	v_sub_f32_e32 v62, v61, v60
	v_fma_f32 v61, -v57, v61, 1.0
	v_cmp_gt_f32_e32 vcc_lo, 0, v62
	v_cmp_lt_f32_e64 s6, v62, v147
	v_cndmask_b32_e64 v63, 0, 0x42980000, vcc_lo
	s_delay_alu instid0(VALU_DEP_1) | instskip(SKIP_1) | instid1(VALU_DEP_4)
	v_fmac_f32_e32 v130, v61, v63
	v_fma_f32 v61, -v56, v62, 1.0
	v_cndmask_b32_e64 v63, 0, 1.0, s6
	v_cmp_lt_f32_e64 s6, v62, v140
	s_delay_alu instid0(VALU_DEP_3) | instskip(NEXT) | instid1(VALU_DEP_2)
	v_cndmask_b32_e64 v61, v61, 1.0, vcc_lo
	s_and_b32 s6, s5, s6
	s_delay_alu instid0(VALU_DEP_1) | instskip(SKIP_1) | instid1(VALU_DEP_2)
	v_mul_f32_e32 v61, v63, v61
	v_sub_f32_e32 v63, v70, v146
	v_mul_f32_e32 v61, v59, v61
	s_delay_alu instid0(VALU_DEP_1) | instskip(NEXT) | instid1(VALU_DEP_1)
	v_cndmask_b32_e64 v61, v61, -|v61|, s23
	v_fmac_f32_e32 v130, 0x42340000, v61
	v_fma_f32 v61, -v58, v62, 1.0
	v_cndmask_b32_e64 v62, 0, 1.0, s6
	s_delay_alu instid0(VALU_DEP_2) | instskip(NEXT) | instid1(VALU_DEP_2)
	v_cndmask_b32_e64 v61, v61, 1.0, vcc_lo
	v_mul_f32_e32 v62, v55, v62
	s_delay_alu instid0(VALU_DEP_1) | instskip(SKIP_1) | instid1(VALU_DEP_1)
	v_fmac_f32_e32 v130, v61, v62
	v_dual_sub_f32 v62, v69, v145 :: v_dual_sub_f32 v61, v66, v144
	v_mul_f32_e32 v62, v62, v62
	s_delay_alu instid0(VALU_DEP_1) | instskip(NEXT) | instid1(VALU_DEP_1)
	v_fmac_f32_e32 v62, v61, v61
	v_fmac_f32_e32 v62, v63, v63
	s_delay_alu instid0(VALU_DEP_1) | instskip(SKIP_1) | instid1(VALU_DEP_1)
	v_cmp_gt_f32_e32 vcc_lo, 0xf800000, v62
	v_mul_f32_e32 v61, 0x4f800000, v62
	v_cndmask_b32_e32 v61, v62, v61, vcc_lo
	s_delay_alu instid0(VALU_DEP_1) | instskip(SKIP_2) | instid1(VALU_DEP_1)
	v_sqrt_f32_e32 v62, v61
	s_waitcnt_depctr 0xfff
	v_add_nc_u32_e32 v63, -1, v62
	v_fma_f32 v64, -v63, v62, v61
	s_delay_alu instid0(VALU_DEP_1) | instskip(SKIP_1) | instid1(VALU_DEP_2)
	v_cmp_ge_f32_e64 s6, 0, v64
	v_add_nc_u32_e32 v64, 1, v62
	v_cndmask_b32_e64 v63, v62, v63, s6
	s_delay_alu instid0(VALU_DEP_2) | instskip(NEXT) | instid1(VALU_DEP_1)
	v_fma_f32 v62, -v64, v62, v61
	v_cmp_lt_f32_e64 s6, 0, v62
	s_delay_alu instid0(VALU_DEP_1) | instskip(NEXT) | instid1(VALU_DEP_1)
	v_cndmask_b32_e64 v62, v63, v64, s6
	v_mul_f32_e32 v63, 0x37800000, v62
	s_delay_alu instid0(VALU_DEP_1) | instskip(SKIP_1) | instid1(VALU_DEP_2)
	v_cndmask_b32_e32 v62, v62, v63, vcc_lo
	v_cmp_class_f32_e64 vcc_lo, v61, 0x260
	v_cndmask_b32_e32 v61, v62, v61, vcc_lo
	s_delay_alu instid0(VALU_DEP_1) | instskip(SKIP_1) | instid1(VALU_DEP_2)
	v_sub_f32_e32 v62, v61, v60
	v_fma_f32 v61, -v57, v61, 1.0
	v_cmp_gt_f32_e32 vcc_lo, 0, v62
	v_cmp_lt_f32_e64 s6, v62, v147
	v_cndmask_b32_e64 v63, 0, 0x42980000, vcc_lo
	s_delay_alu instid0(VALU_DEP_1) | instskip(SKIP_1) | instid1(VALU_DEP_4)
	v_fmac_f32_e32 v131, v61, v63
	v_fma_f32 v61, -v56, v62, 1.0
	v_cndmask_b32_e64 v63, 0, 1.0, s6
	v_cmp_lt_f32_e64 s6, v62, v140
	s_delay_alu instid0(VALU_DEP_3) | instskip(NEXT) | instid1(VALU_DEP_2)
	v_cndmask_b32_e64 v61, v61, 1.0, vcc_lo
	s_and_b32 s6, s5, s6
	s_delay_alu instid0(VALU_DEP_1) | instskip(SKIP_1) | instid1(VALU_DEP_2)
	v_mul_f32_e32 v61, v63, v61
	v_sub_f32_e32 v63, v81, v146
	v_mul_f32_e32 v61, v59, v61
	s_delay_alu instid0(VALU_DEP_1) | instskip(NEXT) | instid1(VALU_DEP_1)
	v_cndmask_b32_e64 v61, v61, -|v61|, s23
	v_fmac_f32_e32 v131, 0x42340000, v61
	v_fma_f32 v61, -v58, v62, 1.0
	v_cndmask_b32_e64 v62, 0, 1.0, s6
	s_delay_alu instid0(VALU_DEP_2) | instskip(NEXT) | instid1(VALU_DEP_2)
	v_cndmask_b32_e64 v61, v61, 1.0, vcc_lo
	v_mul_f32_e32 v62, v55, v62
	s_delay_alu instid0(VALU_DEP_1) | instskip(NEXT) | instid1(VALU_DEP_1)
	v_dual_fmac_f32 v131, v61, v62 :: v_dual_sub_f32 v62, v80, v145
	v_dual_sub_f32 v61, v72, v144 :: v_dual_mul_f32 v62, v62, v62
	s_delay_alu instid0(VALU_DEP_1) | instskip(NEXT) | instid1(VALU_DEP_1)
	v_fmac_f32_e32 v62, v61, v61
	v_fmac_f32_e32 v62, v63, v63
	s_delay_alu instid0(VALU_DEP_1) | instskip(SKIP_1) | instid1(VALU_DEP_1)
	v_cmp_gt_f32_e32 vcc_lo, 0xf800000, v62
	v_mul_f32_e32 v61, 0x4f800000, v62
	v_cndmask_b32_e32 v61, v62, v61, vcc_lo
	s_delay_alu instid0(VALU_DEP_1) | instskip(SKIP_2) | instid1(VALU_DEP_1)
	v_sqrt_f32_e32 v62, v61
	s_waitcnt_depctr 0xfff
	v_add_nc_u32_e32 v63, -1, v62
	v_fma_f32 v64, -v63, v62, v61
	s_delay_alu instid0(VALU_DEP_1) | instskip(SKIP_1) | instid1(VALU_DEP_2)
	v_cmp_ge_f32_e64 s6, 0, v64
	v_add_nc_u32_e32 v64, 1, v62
	v_cndmask_b32_e64 v63, v62, v63, s6
	s_delay_alu instid0(VALU_DEP_2) | instskip(NEXT) | instid1(VALU_DEP_1)
	v_fma_f32 v62, -v64, v62, v61
	v_cmp_lt_f32_e64 s6, 0, v62
	s_delay_alu instid0(VALU_DEP_1) | instskip(NEXT) | instid1(VALU_DEP_1)
	v_cndmask_b32_e64 v62, v63, v64, s6
	v_mul_f32_e32 v63, 0x37800000, v62
	s_delay_alu instid0(VALU_DEP_1) | instskip(SKIP_1) | instid1(VALU_DEP_2)
	v_cndmask_b32_e32 v62, v62, v63, vcc_lo
	v_cmp_class_f32_e64 vcc_lo, v61, 0x260
	v_cndmask_b32_e32 v61, v62, v61, vcc_lo
	s_delay_alu instid0(VALU_DEP_1) | instskip(SKIP_1) | instid1(VALU_DEP_2)
	v_sub_f32_e32 v62, v61, v60
	v_fma_f32 v61, -v57, v61, 1.0
	v_cmp_gt_f32_e32 vcc_lo, 0, v62
	v_cmp_lt_f32_e64 s6, v62, v147
	v_cndmask_b32_e64 v63, 0, 0x42980000, vcc_lo
	s_delay_alu instid0(VALU_DEP_1) | instskip(SKIP_1) | instid1(VALU_DEP_4)
	v_fmac_f32_e32 v124, v61, v63
	v_fma_f32 v61, -v56, v62, 1.0
	v_cndmask_b32_e64 v63, 0, 1.0, s6
	v_cmp_lt_f32_e64 s6, v62, v140
	s_delay_alu instid0(VALU_DEP_3) | instskip(NEXT) | instid1(VALU_DEP_2)
	v_cndmask_b32_e64 v61, v61, 1.0, vcc_lo
	s_and_b32 s6, s5, s6
	s_delay_alu instid0(VALU_DEP_1) | instskip(SKIP_1) | instid1(VALU_DEP_2)
	v_mul_f32_e32 v61, v63, v61
	v_sub_f32_e32 v63, v86, v146
	v_mul_f32_e32 v61, v59, v61
	s_delay_alu instid0(VALU_DEP_1) | instskip(NEXT) | instid1(VALU_DEP_1)
	v_cndmask_b32_e64 v61, v61, -|v61|, s23
	v_fmac_f32_e32 v124, 0x42340000, v61
	v_fma_f32 v61, -v58, v62, 1.0
	v_cndmask_b32_e64 v62, 0, 1.0, s6
	s_delay_alu instid0(VALU_DEP_2) | instskip(NEXT) | instid1(VALU_DEP_2)
	v_cndmask_b32_e64 v61, v61, 1.0, vcc_lo
	v_mul_f32_e32 v62, v55, v62
	s_delay_alu instid0(VALU_DEP_1) | instskip(SKIP_1) | instid1(VALU_DEP_1)
	v_fmac_f32_e32 v124, v61, v62
	v_dual_sub_f32 v62, v84, v145 :: v_dual_sub_f32 v61, v83, v144
	v_mul_f32_e32 v62, v62, v62
	s_delay_alu instid0(VALU_DEP_1) | instskip(NEXT) | instid1(VALU_DEP_1)
	v_fmac_f32_e32 v62, v61, v61
	v_fmac_f32_e32 v62, v63, v63
	s_delay_alu instid0(VALU_DEP_1) | instskip(SKIP_1) | instid1(VALU_DEP_1)
	v_cmp_gt_f32_e32 vcc_lo, 0xf800000, v62
	v_mul_f32_e32 v61, 0x4f800000, v62
	v_cndmask_b32_e32 v61, v62, v61, vcc_lo
	s_delay_alu instid0(VALU_DEP_1) | instskip(SKIP_2) | instid1(VALU_DEP_1)
	v_sqrt_f32_e32 v62, v61
	s_waitcnt_depctr 0xfff
	v_add_nc_u32_e32 v63, -1, v62
	v_fma_f32 v64, -v63, v62, v61
	s_delay_alu instid0(VALU_DEP_1) | instskip(SKIP_1) | instid1(VALU_DEP_2)
	v_cmp_ge_f32_e64 s6, 0, v64
	v_add_nc_u32_e32 v64, 1, v62
	v_cndmask_b32_e64 v63, v62, v63, s6
	s_delay_alu instid0(VALU_DEP_2) | instskip(NEXT) | instid1(VALU_DEP_1)
	v_fma_f32 v62, -v64, v62, v61
	v_cmp_lt_f32_e64 s6, 0, v62
	s_delay_alu instid0(VALU_DEP_1) | instskip(NEXT) | instid1(VALU_DEP_1)
	v_cndmask_b32_e64 v62, v63, v64, s6
	v_mul_f32_e32 v63, 0x37800000, v62
	s_delay_alu instid0(VALU_DEP_1) | instskip(SKIP_1) | instid1(VALU_DEP_2)
	v_cndmask_b32_e32 v62, v62, v63, vcc_lo
	v_cmp_class_f32_e64 vcc_lo, v61, 0x260
	v_cndmask_b32_e32 v61, v62, v61, vcc_lo
	s_delay_alu instid0(VALU_DEP_1) | instskip(SKIP_1) | instid1(VALU_DEP_2)
	v_sub_f32_e32 v62, v61, v60
	v_fma_f32 v61, -v57, v61, 1.0
	v_cmp_gt_f32_e32 vcc_lo, 0, v62
	v_cmp_lt_f32_e64 s6, v62, v147
	v_cndmask_b32_e64 v63, 0, 0x42980000, vcc_lo
	s_delay_alu instid0(VALU_DEP_1) | instskip(SKIP_1) | instid1(VALU_DEP_4)
	v_fmac_f32_e32 v125, v61, v63
	v_fma_f32 v61, -v56, v62, 1.0
	v_cndmask_b32_e64 v63, 0, 1.0, s6
	v_cmp_lt_f32_e64 s6, v62, v140
	s_delay_alu instid0(VALU_DEP_3) | instskip(NEXT) | instid1(VALU_DEP_2)
	v_cndmask_b32_e64 v61, v61, 1.0, vcc_lo
	s_and_b32 s6, s5, s6
	s_delay_alu instid0(VALU_DEP_1) | instskip(SKIP_1) | instid1(VALU_DEP_2)
	v_mul_f32_e32 v61, v63, v61
	v_sub_f32_e32 v63, v91, v146
	v_mul_f32_e32 v61, v59, v61
	s_delay_alu instid0(VALU_DEP_1) | instskip(NEXT) | instid1(VALU_DEP_1)
	v_cndmask_b32_e64 v61, v61, -|v61|, s23
	v_fmac_f32_e32 v125, 0x42340000, v61
	v_fma_f32 v61, -v58, v62, 1.0
	v_cndmask_b32_e64 v62, 0, 1.0, s6
	s_delay_alu instid0(VALU_DEP_2) | instskip(NEXT) | instid1(VALU_DEP_2)
	v_cndmask_b32_e64 v61, v61, 1.0, vcc_lo
	v_mul_f32_e32 v62, v55, v62
	s_delay_alu instid0(VALU_DEP_1) | instskip(SKIP_1) | instid1(VALU_DEP_1)
	v_fmac_f32_e32 v125, v61, v62
	v_dual_sub_f32 v62, v89, v145 :: v_dual_sub_f32 v61, v88, v144
	v_mul_f32_e32 v62, v62, v62
	;; [unrolled: 56-line block ×3, first 2 shown]
	s_delay_alu instid0(VALU_DEP_1) | instskip(NEXT) | instid1(VALU_DEP_1)
	v_fmac_f32_e32 v62, v61, v61
	v_fmac_f32_e32 v62, v63, v63
	s_delay_alu instid0(VALU_DEP_1) | instskip(SKIP_1) | instid1(VALU_DEP_1)
	v_cmp_gt_f32_e32 vcc_lo, 0xf800000, v62
	v_mul_f32_e32 v61, 0x4f800000, v62
	v_cndmask_b32_e32 v61, v62, v61, vcc_lo
	s_delay_alu instid0(VALU_DEP_1) | instskip(SKIP_2) | instid1(VALU_DEP_1)
	v_sqrt_f32_e32 v62, v61
	s_waitcnt_depctr 0xfff
	v_add_nc_u32_e32 v63, -1, v62
	v_fma_f32 v64, -v63, v62, v61
	s_delay_alu instid0(VALU_DEP_1) | instskip(SKIP_1) | instid1(VALU_DEP_2)
	v_cmp_ge_f32_e64 s6, 0, v64
	v_add_nc_u32_e32 v64, 1, v62
	v_cndmask_b32_e64 v63, v62, v63, s6
	s_delay_alu instid0(VALU_DEP_2) | instskip(NEXT) | instid1(VALU_DEP_1)
	v_fma_f32 v62, -v64, v62, v61
	v_cmp_lt_f32_e64 s6, 0, v62
	s_delay_alu instid0(VALU_DEP_1) | instskip(NEXT) | instid1(VALU_DEP_1)
	v_cndmask_b32_e64 v62, v63, v64, s6
	v_mul_f32_e32 v63, 0x37800000, v62
	s_delay_alu instid0(VALU_DEP_1) | instskip(SKIP_1) | instid1(VALU_DEP_2)
	v_cndmask_b32_e32 v62, v62, v63, vcc_lo
	v_cmp_class_f32_e64 vcc_lo, v61, 0x260
	v_cndmask_b32_e32 v61, v62, v61, vcc_lo
	s_delay_alu instid0(VALU_DEP_1) | instskip(SKIP_1) | instid1(VALU_DEP_2)
	v_sub_f32_e32 v62, v61, v60
	v_fma_f32 v61, -v57, v61, 1.0
	v_cmp_gt_f32_e32 vcc_lo, 0, v62
	v_cmp_lt_f32_e64 s6, v62, v147
	v_cndmask_b32_e64 v63, 0, 0x42980000, vcc_lo
	s_delay_alu instid0(VALU_DEP_1) | instskip(SKIP_1) | instid1(VALU_DEP_4)
	v_fmac_f32_e32 v127, v61, v63
	v_fma_f32 v61, -v56, v62, 1.0
	v_cndmask_b32_e64 v63, 0, 1.0, s6
	v_cmp_lt_f32_e64 s6, v62, v140
	s_delay_alu instid0(VALU_DEP_3) | instskip(NEXT) | instid1(VALU_DEP_2)
	v_cndmask_b32_e64 v61, v61, 1.0, vcc_lo
	s_and_b32 s6, s5, s6
	s_delay_alu instid0(VALU_DEP_1) | instskip(SKIP_1) | instid1(VALU_DEP_2)
	v_mul_f32_e32 v61, v63, v61
	v_sub_f32_e32 v63, v101, v146
	v_mul_f32_e32 v61, v59, v61
	s_delay_alu instid0(VALU_DEP_1) | instskip(NEXT) | instid1(VALU_DEP_1)
	v_cndmask_b32_e64 v61, v61, -|v61|, s23
	v_fmac_f32_e32 v127, 0x42340000, v61
	v_fma_f32 v61, -v58, v62, 1.0
	v_cndmask_b32_e64 v62, 0, 1.0, s6
	s_delay_alu instid0(VALU_DEP_2) | instskip(NEXT) | instid1(VALU_DEP_2)
	v_cndmask_b32_e64 v61, v61, 1.0, vcc_lo
	v_mul_f32_e32 v62, v55, v62
	s_delay_alu instid0(VALU_DEP_1) | instskip(SKIP_1) | instid1(VALU_DEP_2)
	v_dual_fmac_f32 v127, v61, v62 :: v_dual_sub_f32 v62, v99, v145
	v_sub_f32_e32 v61, v98, v144
	v_mul_f32_e32 v62, v62, v62
	s_delay_alu instid0(VALU_DEP_1) | instskip(NEXT) | instid1(VALU_DEP_1)
	v_fmac_f32_e32 v62, v61, v61
	v_fmac_f32_e32 v62, v63, v63
	s_delay_alu instid0(VALU_DEP_1) | instskip(SKIP_1) | instid1(VALU_DEP_1)
	v_cmp_gt_f32_e32 vcc_lo, 0xf800000, v62
	v_mul_f32_e32 v61, 0x4f800000, v62
	v_cndmask_b32_e32 v61, v62, v61, vcc_lo
	s_delay_alu instid0(VALU_DEP_1) | instskip(SKIP_2) | instid1(VALU_DEP_1)
	v_sqrt_f32_e32 v62, v61
	s_waitcnt_depctr 0xfff
	v_add_nc_u32_e32 v63, -1, v62
	v_fma_f32 v64, -v63, v62, v61
	s_delay_alu instid0(VALU_DEP_1) | instskip(SKIP_1) | instid1(VALU_DEP_2)
	v_cmp_ge_f32_e64 s6, 0, v64
	v_add_nc_u32_e32 v64, 1, v62
	v_cndmask_b32_e64 v63, v62, v63, s6
	s_delay_alu instid0(VALU_DEP_2) | instskip(NEXT) | instid1(VALU_DEP_1)
	v_fma_f32 v62, -v64, v62, v61
	v_cmp_lt_f32_e64 s6, 0, v62
	s_delay_alu instid0(VALU_DEP_1) | instskip(NEXT) | instid1(VALU_DEP_1)
	v_cndmask_b32_e64 v62, v63, v64, s6
	v_mul_f32_e32 v63, 0x37800000, v62
	s_delay_alu instid0(VALU_DEP_1) | instskip(SKIP_1) | instid1(VALU_DEP_2)
	v_cndmask_b32_e32 v62, v62, v63, vcc_lo
	v_cmp_class_f32_e64 vcc_lo, v61, 0x260
	v_cndmask_b32_e32 v61, v62, v61, vcc_lo
	s_delay_alu instid0(VALU_DEP_1) | instskip(SKIP_1) | instid1(VALU_DEP_2)
	v_sub_f32_e32 v62, v61, v60
	v_fma_f32 v61, -v57, v61, 1.0
	v_cmp_gt_f32_e32 vcc_lo, 0, v62
	v_cmp_lt_f32_e64 s6, v62, v147
	v_cndmask_b32_e64 v63, 0, 0x42980000, vcc_lo
	s_delay_alu instid0(VALU_DEP_1) | instskip(SKIP_1) | instid1(VALU_DEP_4)
	v_fmac_f32_e32 v120, v61, v63
	v_fma_f32 v61, -v56, v62, 1.0
	v_cndmask_b32_e64 v63, 0, 1.0, s6
	v_cmp_lt_f32_e64 s6, v62, v140
	s_delay_alu instid0(VALU_DEP_3) | instskip(NEXT) | instid1(VALU_DEP_2)
	v_cndmask_b32_e64 v61, v61, 1.0, vcc_lo
	s_and_b32 s6, s5, s6
	s_delay_alu instid0(VALU_DEP_1) | instskip(SKIP_1) | instid1(VALU_DEP_2)
	v_mul_f32_e32 v61, v63, v61
	v_sub_f32_e32 v63, v149, v146
	v_mul_f32_e32 v61, v59, v61
	s_delay_alu instid0(VALU_DEP_1) | instskip(NEXT) | instid1(VALU_DEP_1)
	v_cndmask_b32_e64 v61, v61, -|v61|, s23
	v_fmac_f32_e32 v120, 0x42340000, v61
	v_fma_f32 v61, -v58, v62, 1.0
	v_cndmask_b32_e64 v62, 0, 1.0, s6
	s_delay_alu instid0(VALU_DEP_2) | instskip(NEXT) | instid1(VALU_DEP_2)
	v_cndmask_b32_e64 v61, v61, 1.0, vcc_lo
	v_mul_f32_e32 v62, v55, v62
	s_delay_alu instid0(VALU_DEP_1) | instskip(SKIP_1) | instid1(VALU_DEP_1)
	v_fmac_f32_e32 v120, v61, v62
	v_dual_sub_f32 v62, v105, v145 :: v_dual_sub_f32 v61, v102, v144
	v_mul_f32_e32 v62, v62, v62
	s_delay_alu instid0(VALU_DEP_1) | instskip(NEXT) | instid1(VALU_DEP_1)
	v_fmac_f32_e32 v62, v61, v61
	v_fmac_f32_e32 v62, v63, v63
	s_delay_alu instid0(VALU_DEP_1) | instskip(SKIP_1) | instid1(VALU_DEP_1)
	v_cmp_gt_f32_e32 vcc_lo, 0xf800000, v62
	v_mul_f32_e32 v61, 0x4f800000, v62
	v_cndmask_b32_e32 v61, v62, v61, vcc_lo
	s_delay_alu instid0(VALU_DEP_1) | instskip(SKIP_2) | instid1(VALU_DEP_1)
	v_sqrt_f32_e32 v62, v61
	s_waitcnt_depctr 0xfff
	v_add_nc_u32_e32 v63, -1, v62
	v_fma_f32 v64, -v63, v62, v61
	s_delay_alu instid0(VALU_DEP_1) | instskip(SKIP_1) | instid1(VALU_DEP_2)
	v_cmp_ge_f32_e64 s6, 0, v64
	v_add_nc_u32_e32 v64, 1, v62
	v_cndmask_b32_e64 v63, v62, v63, s6
	s_delay_alu instid0(VALU_DEP_2) | instskip(NEXT) | instid1(VALU_DEP_1)
	v_fma_f32 v62, -v64, v62, v61
	v_cmp_lt_f32_e64 s6, 0, v62
	s_delay_alu instid0(VALU_DEP_1) | instskip(NEXT) | instid1(VALU_DEP_1)
	v_cndmask_b32_e64 v62, v63, v64, s6
	v_mul_f32_e32 v63, 0x37800000, v62
	s_delay_alu instid0(VALU_DEP_1) | instskip(SKIP_1) | instid1(VALU_DEP_2)
	v_cndmask_b32_e32 v62, v62, v63, vcc_lo
	v_cmp_class_f32_e64 vcc_lo, v61, 0x260
	v_cndmask_b32_e32 v61, v62, v61, vcc_lo
	s_delay_alu instid0(VALU_DEP_1) | instskip(SKIP_1) | instid1(VALU_DEP_2)
	v_sub_f32_e32 v62, v61, v60
	v_fma_f32 v61, -v57, v61, 1.0
	v_cmp_gt_f32_e32 vcc_lo, 0, v62
	v_cmp_lt_f32_e64 s6, v62, v147
	v_cndmask_b32_e64 v63, 0, 0x42980000, vcc_lo
	s_delay_alu instid0(VALU_DEP_1) | instskip(SKIP_1) | instid1(VALU_DEP_4)
	v_fmac_f32_e32 v121, v61, v63
	v_fma_f32 v61, -v56, v62, 1.0
	v_cndmask_b32_e64 v63, 0, 1.0, s6
	v_cmp_lt_f32_e64 s6, v62, v140
	s_delay_alu instid0(VALU_DEP_3) | instskip(NEXT) | instid1(VALU_DEP_2)
	v_cndmask_b32_e64 v61, v61, 1.0, vcc_lo
	s_and_b32 s6, s5, s6
	s_delay_alu instid0(VALU_DEP_1) | instskip(SKIP_1) | instid1(VALU_DEP_2)
	v_mul_f32_e32 v61, v63, v61
	v_sub_f32_e32 v63, v158, v146
	v_mul_f32_e32 v61, v59, v61
	s_delay_alu instid0(VALU_DEP_1) | instskip(NEXT) | instid1(VALU_DEP_1)
	v_cndmask_b32_e64 v61, v61, -|v61|, s23
	v_fmac_f32_e32 v121, 0x42340000, v61
	v_fma_f32 v61, -v58, v62, 1.0
	v_cndmask_b32_e64 v62, 0, 1.0, s6
	s_delay_alu instid0(VALU_DEP_2) | instskip(NEXT) | instid1(VALU_DEP_2)
	v_cndmask_b32_e64 v61, v61, 1.0, vcc_lo
	v_mul_f32_e32 v62, v55, v62
	s_delay_alu instid0(VALU_DEP_1) | instskip(NEXT) | instid1(VALU_DEP_1)
	v_dual_fmac_f32 v121, v61, v62 :: v_dual_sub_f32 v62, v155, v145
	v_dual_sub_f32 v61, v152, v144 :: v_dual_mul_f32 v62, v62, v62
	s_delay_alu instid0(VALU_DEP_1) | instskip(NEXT) | instid1(VALU_DEP_1)
	v_fmac_f32_e32 v62, v61, v61
	v_fmac_f32_e32 v62, v63, v63
	s_delay_alu instid0(VALU_DEP_1) | instskip(SKIP_1) | instid1(VALU_DEP_1)
	v_cmp_gt_f32_e32 vcc_lo, 0xf800000, v62
	v_mul_f32_e32 v61, 0x4f800000, v62
	v_cndmask_b32_e32 v61, v62, v61, vcc_lo
	s_delay_alu instid0(VALU_DEP_1) | instskip(SKIP_2) | instid1(VALU_DEP_1)
	v_sqrt_f32_e32 v62, v61
	s_waitcnt_depctr 0xfff
	v_add_nc_u32_e32 v63, -1, v62
	v_fma_f32 v64, -v63, v62, v61
	s_delay_alu instid0(VALU_DEP_1) | instskip(SKIP_1) | instid1(VALU_DEP_2)
	v_cmp_ge_f32_e64 s6, 0, v64
	v_add_nc_u32_e32 v64, 1, v62
	v_cndmask_b32_e64 v63, v62, v63, s6
	s_delay_alu instid0(VALU_DEP_2) | instskip(NEXT) | instid1(VALU_DEP_1)
	v_fma_f32 v62, -v64, v62, v61
	v_cmp_lt_f32_e64 s6, 0, v62
	s_delay_alu instid0(VALU_DEP_1) | instskip(NEXT) | instid1(VALU_DEP_1)
	v_cndmask_b32_e64 v62, v63, v64, s6
	v_mul_f32_e32 v63, 0x37800000, v62
	s_delay_alu instid0(VALU_DEP_1) | instskip(SKIP_1) | instid1(VALU_DEP_2)
	v_cndmask_b32_e32 v62, v62, v63, vcc_lo
	v_cmp_class_f32_e64 vcc_lo, v61, 0x260
	v_cndmask_b32_e32 v61, v62, v61, vcc_lo
	s_delay_alu instid0(VALU_DEP_1) | instskip(SKIP_1) | instid1(VALU_DEP_2)
	v_sub_f32_e32 v62, v61, v60
	v_fma_f32 v61, -v57, v61, 1.0
	v_cmp_gt_f32_e32 vcc_lo, 0, v62
	v_cmp_lt_f32_e64 s6, v62, v147
	v_cndmask_b32_e64 v63, 0, 0x42980000, vcc_lo
	s_delay_alu instid0(VALU_DEP_1) | instskip(SKIP_1) | instid1(VALU_DEP_4)
	v_fmac_f32_e32 v122, v61, v63
	v_fma_f32 v61, -v56, v62, 1.0
	v_cndmask_b32_e64 v63, 0, 1.0, s6
	v_cmp_lt_f32_e64 s6, v62, v140
	s_delay_alu instid0(VALU_DEP_3) | instskip(NEXT) | instid1(VALU_DEP_2)
	v_cndmask_b32_e64 v61, v61, 1.0, vcc_lo
	s_and_b32 s6, s5, s6
	s_delay_alu instid0(VALU_DEP_1) | instskip(SKIP_1) | instid1(VALU_DEP_2)
	v_mul_f32_e32 v61, v63, v61
	v_sub_f32_e32 v63, v162, v146
	v_mul_f32_e32 v61, v59, v61
	s_delay_alu instid0(VALU_DEP_1) | instskip(NEXT) | instid1(VALU_DEP_1)
	v_cndmask_b32_e64 v61, v61, -|v61|, s23
	v_fmac_f32_e32 v122, 0x42340000, v61
	v_fma_f32 v61, -v58, v62, 1.0
	v_cndmask_b32_e64 v62, 0, 1.0, s6
	s_delay_alu instid0(VALU_DEP_2) | instskip(NEXT) | instid1(VALU_DEP_2)
	v_cndmask_b32_e64 v61, v61, 1.0, vcc_lo
	v_mul_f32_e32 v62, v55, v62
	s_delay_alu instid0(VALU_DEP_1) | instskip(SKIP_1) | instid1(VALU_DEP_1)
	v_fmac_f32_e32 v122, v61, v62
	v_dual_sub_f32 v62, v160, v145 :: v_dual_sub_f32 v61, v161, v144
	v_mul_f32_e32 v62, v62, v62
	s_delay_alu instid0(VALU_DEP_1) | instskip(NEXT) | instid1(VALU_DEP_1)
	v_fmac_f32_e32 v62, v61, v61
	v_fmac_f32_e32 v62, v63, v63
	s_delay_alu instid0(VALU_DEP_1) | instskip(SKIP_1) | instid1(VALU_DEP_1)
	v_cmp_gt_f32_e32 vcc_lo, 0xf800000, v62
	v_mul_f32_e32 v61, 0x4f800000, v62
	v_cndmask_b32_e32 v61, v62, v61, vcc_lo
	s_delay_alu instid0(VALU_DEP_1) | instskip(SKIP_2) | instid1(VALU_DEP_1)
	v_sqrt_f32_e32 v62, v61
	s_waitcnt_depctr 0xfff
	v_add_nc_u32_e32 v63, -1, v62
	v_fma_f32 v64, -v63, v62, v61
	s_delay_alu instid0(VALU_DEP_1) | instskip(SKIP_1) | instid1(VALU_DEP_2)
	v_cmp_ge_f32_e64 s6, 0, v64
	v_add_nc_u32_e32 v64, 1, v62
	v_cndmask_b32_e64 v63, v62, v63, s6
	s_delay_alu instid0(VALU_DEP_2) | instskip(NEXT) | instid1(VALU_DEP_1)
	v_fma_f32 v62, -v64, v62, v61
	v_cmp_lt_f32_e64 s6, 0, v62
	s_delay_alu instid0(VALU_DEP_1) | instskip(NEXT) | instid1(VALU_DEP_1)
	v_cndmask_b32_e64 v62, v63, v64, s6
	v_mul_f32_e32 v63, 0x37800000, v62
	s_delay_alu instid0(VALU_DEP_1) | instskip(SKIP_1) | instid1(VALU_DEP_2)
	v_cndmask_b32_e32 v62, v62, v63, vcc_lo
	v_cmp_class_f32_e64 vcc_lo, v61, 0x260
	v_cndmask_b32_e32 v61, v62, v61, vcc_lo
	s_delay_alu instid0(VALU_DEP_1) | instskip(SKIP_1) | instid1(VALU_DEP_2)
	v_sub_f32_e32 v62, v61, v60
	v_fma_f32 v61, -v57, v61, 1.0
	v_cmp_gt_f32_e32 vcc_lo, 0, v62
	v_cmp_lt_f32_e64 s6, v62, v147
	v_cndmask_b32_e64 v63, 0, 0x42980000, vcc_lo
	s_delay_alu instid0(VALU_DEP_1) | instskip(SKIP_1) | instid1(VALU_DEP_4)
	v_fmac_f32_e32 v123, v61, v63
	v_fma_f32 v61, -v56, v62, 1.0
	v_cndmask_b32_e64 v63, 0, 1.0, s6
	v_cmp_lt_f32_e64 s6, v62, v140
	s_delay_alu instid0(VALU_DEP_3) | instskip(NEXT) | instid1(VALU_DEP_2)
	v_cndmask_b32_e64 v61, v61, 1.0, vcc_lo
	s_and_b32 s6, s5, s6
	s_delay_alu instid0(VALU_DEP_1) | instskip(SKIP_1) | instid1(VALU_DEP_2)
	v_mul_f32_e32 v61, v63, v61
	v_sub_f32_e32 v63, v166, v146
	v_mul_f32_e32 v61, v59, v61
	s_delay_alu instid0(VALU_DEP_1) | instskip(NEXT) | instid1(VALU_DEP_1)
	v_cndmask_b32_e64 v61, v61, -|v61|, s23
	v_fmac_f32_e32 v123, 0x42340000, v61
	v_fma_f32 v61, -v58, v62, 1.0
	v_cndmask_b32_e64 v62, 0, 1.0, s6
	s_delay_alu instid0(VALU_DEP_2) | instskip(NEXT) | instid1(VALU_DEP_2)
	v_cndmask_b32_e64 v61, v61, 1.0, vcc_lo
	v_mul_f32_e32 v62, v55, v62
	s_delay_alu instid0(VALU_DEP_1) | instskip(SKIP_1) | instid1(VALU_DEP_1)
	v_fmac_f32_e32 v123, v61, v62
	v_dual_sub_f32 v62, v165, v145 :: v_dual_sub_f32 v61, v163, v144
	v_mul_f32_e32 v62, v62, v62
	s_delay_alu instid0(VALU_DEP_1) | instskip(NEXT) | instid1(VALU_DEP_1)
	v_fmac_f32_e32 v62, v61, v61
	v_fmac_f32_e32 v62, v63, v63
	s_delay_alu instid0(VALU_DEP_1) | instskip(SKIP_1) | instid1(VALU_DEP_1)
	v_cmp_gt_f32_e32 vcc_lo, 0xf800000, v62
	v_mul_f32_e32 v61, 0x4f800000, v62
	v_cndmask_b32_e32 v61, v62, v61, vcc_lo
	s_delay_alu instid0(VALU_DEP_1) | instskip(SKIP_2) | instid1(VALU_DEP_1)
	v_sqrt_f32_e32 v62, v61
	s_waitcnt_depctr 0xfff
	v_add_nc_u32_e32 v63, -1, v62
	v_fma_f32 v64, -v63, v62, v61
	s_delay_alu instid0(VALU_DEP_1) | instskip(SKIP_1) | instid1(VALU_DEP_2)
	v_cmp_ge_f32_e64 s6, 0, v64
	v_add_nc_u32_e32 v64, 1, v62
	v_cndmask_b32_e64 v63, v62, v63, s6
	s_delay_alu instid0(VALU_DEP_2) | instskip(NEXT) | instid1(VALU_DEP_1)
	v_fma_f32 v62, -v64, v62, v61
	v_cmp_lt_f32_e64 s6, 0, v62
	s_delay_alu instid0(VALU_DEP_1) | instskip(NEXT) | instid1(VALU_DEP_1)
	v_cndmask_b32_e64 v62, v63, v64, s6
	v_mul_f32_e32 v63, 0x37800000, v62
	s_delay_alu instid0(VALU_DEP_1) | instskip(SKIP_1) | instid1(VALU_DEP_2)
	v_cndmask_b32_e32 v62, v62, v63, vcc_lo
	v_cmp_class_f32_e64 vcc_lo, v61, 0x260
	v_cndmask_b32_e32 v61, v62, v61, vcc_lo
	s_delay_alu instid0(VALU_DEP_1) | instskip(SKIP_1) | instid1(VALU_DEP_2)
	v_sub_f32_e32 v62, v61, v60
	v_fma_f32 v61, -v57, v61, 1.0
	v_cmp_gt_f32_e32 vcc_lo, 0, v62
	v_cmp_lt_f32_e64 s6, v62, v147
	v_cndmask_b32_e64 v63, 0, 0x42980000, vcc_lo
	s_delay_alu instid0(VALU_DEP_1) | instskip(SKIP_1) | instid1(VALU_DEP_4)
	v_fmac_f32_e32 v116, v61, v63
	v_fma_f32 v61, -v56, v62, 1.0
	v_cndmask_b32_e64 v63, 0, 1.0, s6
	v_cmp_lt_f32_e64 s6, v62, v140
	s_delay_alu instid0(VALU_DEP_3) | instskip(NEXT) | instid1(VALU_DEP_2)
	v_cndmask_b32_e64 v61, v61, 1.0, vcc_lo
	s_and_b32 s6, s5, s6
	s_delay_alu instid0(VALU_DEP_1) | instskip(SKIP_1) | instid1(VALU_DEP_2)
	v_mul_f32_e32 v61, v63, v61
	v_sub_f32_e32 v63, v171, v146
	v_mul_f32_e32 v61, v59, v61
	s_delay_alu instid0(VALU_DEP_1) | instskip(NEXT) | instid1(VALU_DEP_1)
	v_cndmask_b32_e64 v61, v61, -|v61|, s23
	v_fmac_f32_e32 v116, 0x42340000, v61
	v_fma_f32 v61, -v58, v62, 1.0
	v_cndmask_b32_e64 v62, 0, 1.0, s6
	s_delay_alu instid0(VALU_DEP_2) | instskip(NEXT) | instid1(VALU_DEP_2)
	v_cndmask_b32_e64 v61, v61, 1.0, vcc_lo
	v_mul_f32_e32 v62, v55, v62
	s_delay_alu instid0(VALU_DEP_1) | instskip(SKIP_1) | instid1(VALU_DEP_1)
	v_dual_fmac_f32 v116, v61, v62 :: v_dual_sub_f32 v61, v168, v144
	v_sub_f32_e32 v62, v169, v145
	v_mul_f32_e32 v62, v62, v62
	s_delay_alu instid0(VALU_DEP_1) | instskip(NEXT) | instid1(VALU_DEP_1)
	v_fmac_f32_e32 v62, v61, v61
	v_fmac_f32_e32 v62, v63, v63
	s_delay_alu instid0(VALU_DEP_1) | instskip(SKIP_1) | instid1(VALU_DEP_1)
	v_cmp_gt_f32_e32 vcc_lo, 0xf800000, v62
	v_mul_f32_e32 v61, 0x4f800000, v62
	v_cndmask_b32_e32 v61, v62, v61, vcc_lo
	s_delay_alu instid0(VALU_DEP_1) | instskip(SKIP_2) | instid1(VALU_DEP_1)
	v_sqrt_f32_e32 v62, v61
	s_waitcnt_depctr 0xfff
	v_add_nc_u32_e32 v63, -1, v62
	v_fma_f32 v64, -v63, v62, v61
	s_delay_alu instid0(VALU_DEP_1) | instskip(SKIP_1) | instid1(VALU_DEP_2)
	v_cmp_ge_f32_e64 s6, 0, v64
	v_add_nc_u32_e32 v64, 1, v62
	v_cndmask_b32_e64 v63, v62, v63, s6
	s_delay_alu instid0(VALU_DEP_2) | instskip(NEXT) | instid1(VALU_DEP_1)
	v_fma_f32 v62, -v64, v62, v61
	v_cmp_lt_f32_e64 s6, 0, v62
	s_delay_alu instid0(VALU_DEP_1) | instskip(NEXT) | instid1(VALU_DEP_1)
	v_cndmask_b32_e64 v62, v63, v64, s6
	v_mul_f32_e32 v63, 0x37800000, v62
	s_delay_alu instid0(VALU_DEP_1) | instskip(SKIP_1) | instid1(VALU_DEP_2)
	v_cndmask_b32_e32 v62, v62, v63, vcc_lo
	v_cmp_class_f32_e64 vcc_lo, v61, 0x260
	v_cndmask_b32_e32 v61, v62, v61, vcc_lo
	s_delay_alu instid0(VALU_DEP_1) | instskip(SKIP_1) | instid1(VALU_DEP_2)
	v_sub_f32_e32 v62, v61, v60
	v_fma_f32 v61, -v57, v61, 1.0
	v_cmp_gt_f32_e32 vcc_lo, 0, v62
	v_cmp_lt_f32_e64 s6, v62, v147
	v_cndmask_b32_e64 v63, 0, 0x42980000, vcc_lo
	s_delay_alu instid0(VALU_DEP_1) | instskip(SKIP_1) | instid1(VALU_DEP_4)
	v_fmac_f32_e32 v117, v61, v63
	v_fma_f32 v61, -v56, v62, 1.0
	v_cndmask_b32_e64 v63, 0, 1.0, s6
	v_cmp_lt_f32_e64 s6, v62, v140
	s_delay_alu instid0(VALU_DEP_3) | instskip(NEXT) | instid1(VALU_DEP_2)
	v_cndmask_b32_e64 v61, v61, 1.0, vcc_lo
	s_and_b32 s6, s5, s6
	s_delay_alu instid0(VALU_DEP_1) | instskip(SKIP_1) | instid1(VALU_DEP_2)
	v_mul_f32_e32 v61, v63, v61
	v_sub_f32_e32 v63, v172, v146
	v_mul_f32_e32 v61, v59, v61
	s_delay_alu instid0(VALU_DEP_1) | instskip(NEXT) | instid1(VALU_DEP_1)
	v_cndmask_b32_e64 v61, v61, -|v61|, s23
	v_fmac_f32_e32 v117, 0x42340000, v61
	v_fma_f32 v61, -v58, v62, 1.0
	v_cndmask_b32_e64 v62, 0, 1.0, s6
	s_delay_alu instid0(VALU_DEP_2) | instskip(NEXT) | instid1(VALU_DEP_2)
	v_cndmask_b32_e64 v61, v61, 1.0, vcc_lo
	v_mul_f32_e32 v62, v55, v62
	s_delay_alu instid0(VALU_DEP_1) | instskip(NEXT) | instid1(VALU_DEP_1)
	v_dual_fmac_f32 v117, v61, v62 :: v_dual_sub_f32 v62, v104, v145
	v_dual_sub_f32 v61, v103, v144 :: v_dual_mul_f32 v62, v62, v62
	s_delay_alu instid0(VALU_DEP_1) | instskip(NEXT) | instid1(VALU_DEP_1)
	v_fmac_f32_e32 v62, v61, v61
	v_fmac_f32_e32 v62, v63, v63
	s_delay_alu instid0(VALU_DEP_1) | instskip(SKIP_1) | instid1(VALU_DEP_1)
	v_cmp_gt_f32_e32 vcc_lo, 0xf800000, v62
	v_mul_f32_e32 v61, 0x4f800000, v62
	v_cndmask_b32_e32 v61, v62, v61, vcc_lo
	s_delay_alu instid0(VALU_DEP_1) | instskip(SKIP_2) | instid1(VALU_DEP_1)
	v_sqrt_f32_e32 v62, v61
	s_waitcnt_depctr 0xfff
	v_add_nc_u32_e32 v63, -1, v62
	v_fma_f32 v64, -v63, v62, v61
	s_delay_alu instid0(VALU_DEP_1) | instskip(SKIP_1) | instid1(VALU_DEP_2)
	v_cmp_ge_f32_e64 s6, 0, v64
	v_add_nc_u32_e32 v64, 1, v62
	v_cndmask_b32_e64 v63, v62, v63, s6
	s_delay_alu instid0(VALU_DEP_2) | instskip(NEXT) | instid1(VALU_DEP_1)
	v_fma_f32 v62, -v64, v62, v61
	v_cmp_lt_f32_e64 s6, 0, v62
	s_delay_alu instid0(VALU_DEP_1) | instskip(NEXT) | instid1(VALU_DEP_1)
	v_cndmask_b32_e64 v62, v63, v64, s6
	v_mul_f32_e32 v63, 0x37800000, v62
	s_delay_alu instid0(VALU_DEP_1) | instskip(SKIP_1) | instid1(VALU_DEP_2)
	v_cndmask_b32_e32 v62, v62, v63, vcc_lo
	v_cmp_class_f32_e64 vcc_lo, v61, 0x260
	v_cndmask_b32_e32 v61, v62, v61, vcc_lo
	s_delay_alu instid0(VALU_DEP_1) | instskip(SKIP_1) | instid1(VALU_DEP_2)
	v_sub_f32_e32 v62, v61, v60
	v_fma_f32 v61, -v57, v61, 1.0
	v_cmp_gt_f32_e32 vcc_lo, 0, v62
	v_cmp_lt_f32_e64 s6, v62, v147
	v_cndmask_b32_e64 v63, 0, 0x42980000, vcc_lo
	s_delay_alu instid0(VALU_DEP_1) | instskip(SKIP_1) | instid1(VALU_DEP_4)
	v_fmac_f32_e32 v118, v61, v63
	v_fma_f32 v61, -v56, v62, 1.0
	v_cndmask_b32_e64 v63, 0, 1.0, s6
	v_cmp_lt_f32_e64 s6, v62, v140
	s_delay_alu instid0(VALU_DEP_3) | instskip(NEXT) | instid1(VALU_DEP_2)
	v_cndmask_b32_e64 v61, v61, 1.0, vcc_lo
	s_and_b32 s6, s5, s6
	s_delay_alu instid0(VALU_DEP_1) | instskip(SKIP_1) | instid1(VALU_DEP_2)
	v_mul_f32_e32 v61, v63, v61
	v_sub_f32_e32 v63, v150, v146
	v_mul_f32_e32 v61, v59, v61
	s_delay_alu instid0(VALU_DEP_1) | instskip(NEXT) | instid1(VALU_DEP_1)
	v_cndmask_b32_e64 v61, v61, -|v61|, s23
	v_fmac_f32_e32 v118, 0x42340000, v61
	v_fma_f32 v61, -v58, v62, 1.0
	v_cndmask_b32_e64 v62, 0, 1.0, s6
	s_delay_alu instid0(VALU_DEP_2) | instskip(NEXT) | instid1(VALU_DEP_2)
	v_cndmask_b32_e64 v61, v61, 1.0, vcc_lo
	v_mul_f32_e32 v62, v55, v62
	s_delay_alu instid0(VALU_DEP_1) | instskip(SKIP_1) | instid1(VALU_DEP_1)
	v_dual_fmac_f32 v118, v61, v62 :: v_dual_sub_f32 v61, v148, v144
	v_sub_f32_e32 v62, v153, v145
	v_mul_f32_e32 v62, v62, v62
	s_delay_alu instid0(VALU_DEP_1) | instskip(NEXT) | instid1(VALU_DEP_1)
	v_fmac_f32_e32 v62, v61, v61
	v_fmac_f32_e32 v62, v63, v63
	s_delay_alu instid0(VALU_DEP_1) | instskip(SKIP_1) | instid1(VALU_DEP_1)
	v_cmp_gt_f32_e32 vcc_lo, 0xf800000, v62
	v_mul_f32_e32 v61, 0x4f800000, v62
	v_cndmask_b32_e32 v61, v62, v61, vcc_lo
	s_delay_alu instid0(VALU_DEP_1) | instskip(SKIP_2) | instid1(VALU_DEP_1)
	v_sqrt_f32_e32 v62, v61
	s_waitcnt_depctr 0xfff
	v_add_nc_u32_e32 v63, -1, v62
	v_fma_f32 v64, -v63, v62, v61
	s_delay_alu instid0(VALU_DEP_1) | instskip(SKIP_1) | instid1(VALU_DEP_2)
	v_cmp_ge_f32_e64 s6, 0, v64
	v_add_nc_u32_e32 v64, 1, v62
	v_cndmask_b32_e64 v63, v62, v63, s6
	s_delay_alu instid0(VALU_DEP_2) | instskip(NEXT) | instid1(VALU_DEP_1)
	v_fma_f32 v62, -v64, v62, v61
	v_cmp_lt_f32_e64 s6, 0, v62
	s_delay_alu instid0(VALU_DEP_1) | instskip(NEXT) | instid1(VALU_DEP_1)
	v_cndmask_b32_e64 v62, v63, v64, s6
	v_mul_f32_e32 v63, 0x37800000, v62
	s_delay_alu instid0(VALU_DEP_1) | instskip(SKIP_1) | instid1(VALU_DEP_2)
	v_cndmask_b32_e32 v62, v62, v63, vcc_lo
	v_cmp_class_f32_e64 vcc_lo, v61, 0x260
	v_cndmask_b32_e32 v61, v62, v61, vcc_lo
	s_delay_alu instid0(VALU_DEP_1) | instskip(SKIP_1) | instid1(VALU_DEP_2)
	v_sub_f32_e32 v62, v61, v60
	v_fma_f32 v61, -v57, v61, 1.0
	v_cmp_gt_f32_e32 vcc_lo, 0, v62
	v_cmp_lt_f32_e64 s6, v62, v147
	v_cndmask_b32_e64 v63, 0, 0x42980000, vcc_lo
	s_delay_alu instid0(VALU_DEP_1) | instskip(SKIP_1) | instid1(VALU_DEP_4)
	v_fmac_f32_e32 v119, v61, v63
	v_fma_f32 v61, -v56, v62, 1.0
	v_cndmask_b32_e64 v63, 0, 1.0, s6
	v_cmp_lt_f32_e64 s6, v62, v140
	s_delay_alu instid0(VALU_DEP_3) | instskip(NEXT) | instid1(VALU_DEP_2)
	v_cndmask_b32_e64 v61, v61, 1.0, vcc_lo
	s_and_b32 s6, s5, s6
	s_delay_alu instid0(VALU_DEP_1) | instskip(SKIP_1) | instid1(VALU_DEP_2)
	v_mul_f32_e32 v61, v63, v61
	v_sub_f32_e32 v63, v156, v146
	v_mul_f32_e32 v61, v59, v61
	s_delay_alu instid0(VALU_DEP_1) | instskip(NEXT) | instid1(VALU_DEP_1)
	v_cndmask_b32_e64 v61, v61, -|v61|, s23
	v_fmac_f32_e32 v119, 0x42340000, v61
	v_fma_f32 v61, -v58, v62, 1.0
	v_cndmask_b32_e64 v62, 0, 1.0, s6
	s_delay_alu instid0(VALU_DEP_2) | instskip(NEXT) | instid1(VALU_DEP_2)
	v_cndmask_b32_e64 v61, v61, 1.0, vcc_lo
	v_mul_f32_e32 v62, v55, v62
	s_delay_alu instid0(VALU_DEP_1) | instskip(NEXT) | instid1(VALU_DEP_1)
	v_dual_fmac_f32 v119, v61, v62 :: v_dual_sub_f32 v62, v154, v145
	v_dual_sub_f32 v61, v151, v144 :: v_dual_mul_f32 v62, v62, v62
	s_delay_alu instid0(VALU_DEP_1) | instskip(NEXT) | instid1(VALU_DEP_1)
	v_fmac_f32_e32 v62, v61, v61
	v_fmac_f32_e32 v62, v63, v63
	s_delay_alu instid0(VALU_DEP_1) | instskip(SKIP_1) | instid1(VALU_DEP_1)
	v_cmp_gt_f32_e32 vcc_lo, 0xf800000, v62
	v_mul_f32_e32 v61, 0x4f800000, v62
	v_cndmask_b32_e32 v61, v62, v61, vcc_lo
	s_delay_alu instid0(VALU_DEP_1) | instskip(SKIP_2) | instid1(VALU_DEP_1)
	v_sqrt_f32_e32 v62, v61
	s_waitcnt_depctr 0xfff
	v_add_nc_u32_e32 v63, -1, v62
	v_fma_f32 v64, -v63, v62, v61
	s_delay_alu instid0(VALU_DEP_1) | instskip(SKIP_1) | instid1(VALU_DEP_2)
	v_cmp_ge_f32_e64 s6, 0, v64
	v_add_nc_u32_e32 v64, 1, v62
	v_cndmask_b32_e64 v63, v62, v63, s6
	s_delay_alu instid0(VALU_DEP_2) | instskip(NEXT) | instid1(VALU_DEP_1)
	v_fma_f32 v62, -v64, v62, v61
	v_cmp_lt_f32_e64 s6, 0, v62
	s_delay_alu instid0(VALU_DEP_1) | instskip(NEXT) | instid1(VALU_DEP_1)
	v_cndmask_b32_e64 v62, v63, v64, s6
	v_mul_f32_e32 v63, 0x37800000, v62
	s_delay_alu instid0(VALU_DEP_1) | instskip(SKIP_1) | instid1(VALU_DEP_2)
	v_cndmask_b32_e32 v62, v62, v63, vcc_lo
	v_cmp_class_f32_e64 vcc_lo, v61, 0x260
	v_cndmask_b32_e32 v61, v62, v61, vcc_lo
	s_delay_alu instid0(VALU_DEP_1) | instskip(SKIP_1) | instid1(VALU_DEP_2)
	v_sub_f32_e32 v62, v61, v60
	v_fma_f32 v61, -v57, v61, 1.0
	v_cmp_gt_f32_e32 vcc_lo, 0, v62
	v_cmp_lt_f32_e64 s6, v62, v147
	v_cndmask_b32_e64 v63, 0, 0x42980000, vcc_lo
	s_delay_alu instid0(VALU_DEP_1) | instskip(SKIP_1) | instid1(VALU_DEP_4)
	v_fmac_f32_e32 v112, v61, v63
	v_fma_f32 v61, -v56, v62, 1.0
	v_cndmask_b32_e64 v63, 0, 1.0, s6
	v_cmp_lt_f32_e64 s6, v62, v140
	s_delay_alu instid0(VALU_DEP_3) | instskip(NEXT) | instid1(VALU_DEP_2)
	v_cndmask_b32_e64 v61, v61, 1.0, vcc_lo
	s_and_b32 s6, s5, s6
	s_delay_alu instid0(VALU_DEP_1) | instskip(SKIP_1) | instid1(VALU_DEP_2)
	v_mul_f32_e32 v61, v63, v61
	v_sub_f32_e32 v63, v159, v146
	v_mul_f32_e32 v61, v59, v61
	s_delay_alu instid0(VALU_DEP_1) | instskip(NEXT) | instid1(VALU_DEP_1)
	v_cndmask_b32_e64 v61, v61, -|v61|, s23
	v_fmac_f32_e32 v112, 0x42340000, v61
	v_fma_f32 v61, -v58, v62, 1.0
	v_cndmask_b32_e64 v62, 0, 1.0, s6
	s_delay_alu instid0(VALU_DEP_2) | instskip(NEXT) | instid1(VALU_DEP_2)
	v_cndmask_b32_e64 v61, v61, 1.0, vcc_lo
	v_mul_f32_e32 v62, v55, v62
	s_delay_alu instid0(VALU_DEP_1) | instskip(SKIP_1) | instid1(VALU_DEP_1)
	v_dual_fmac_f32 v112, v61, v62 :: v_dual_sub_f32 v61, v78, v144
	v_sub_f32_e32 v62, v157, v145
	v_mul_f32_e32 v62, v62, v62
	s_delay_alu instid0(VALU_DEP_1) | instskip(NEXT) | instid1(VALU_DEP_1)
	v_fmac_f32_e32 v62, v61, v61
	v_fmac_f32_e32 v62, v63, v63
	s_delay_alu instid0(VALU_DEP_1) | instskip(SKIP_1) | instid1(VALU_DEP_1)
	v_cmp_gt_f32_e32 vcc_lo, 0xf800000, v62
	v_mul_f32_e32 v61, 0x4f800000, v62
	v_cndmask_b32_e32 v61, v62, v61, vcc_lo
	s_delay_alu instid0(VALU_DEP_1) | instskip(SKIP_2) | instid1(VALU_DEP_1)
	v_sqrt_f32_e32 v62, v61
	s_waitcnt_depctr 0xfff
	v_add_nc_u32_e32 v63, -1, v62
	v_fma_f32 v64, -v63, v62, v61
	s_delay_alu instid0(VALU_DEP_1) | instskip(SKIP_1) | instid1(VALU_DEP_2)
	v_cmp_ge_f32_e64 s6, 0, v64
	v_add_nc_u32_e32 v64, 1, v62
	v_cndmask_b32_e64 v63, v62, v63, s6
	s_delay_alu instid0(VALU_DEP_2) | instskip(NEXT) | instid1(VALU_DEP_1)
	v_fma_f32 v62, -v64, v62, v61
	v_cmp_lt_f32_e64 s6, 0, v62
	s_delay_alu instid0(VALU_DEP_1) | instskip(NEXT) | instid1(VALU_DEP_1)
	v_cndmask_b32_e64 v62, v63, v64, s6
	v_mul_f32_e32 v63, 0x37800000, v62
	s_delay_alu instid0(VALU_DEP_1) | instskip(SKIP_1) | instid1(VALU_DEP_2)
	v_cndmask_b32_e32 v62, v62, v63, vcc_lo
	v_cmp_class_f32_e64 vcc_lo, v61, 0x260
	v_cndmask_b32_e32 v61, v62, v61, vcc_lo
	s_delay_alu instid0(VALU_DEP_1) | instskip(SKIP_1) | instid1(VALU_DEP_2)
	v_sub_f32_e32 v62, v61, v60
	v_fma_f32 v61, -v57, v61, 1.0
	v_cmp_gt_f32_e32 vcc_lo, 0, v62
	v_cmp_lt_f32_e64 s6, v62, v147
	v_cndmask_b32_e64 v63, 0, 0x42980000, vcc_lo
	s_delay_alu instid0(VALU_DEP_1) | instskip(SKIP_1) | instid1(VALU_DEP_4)
	v_fmac_f32_e32 v113, v61, v63
	v_fma_f32 v61, -v56, v62, 1.0
	v_cndmask_b32_e64 v63, 0, 1.0, s6
	v_cmp_lt_f32_e64 s6, v62, v140
	s_delay_alu instid0(VALU_DEP_3) | instskip(NEXT) | instid1(VALU_DEP_2)
	v_cndmask_b32_e64 v61, v61, 1.0, vcc_lo
	s_and_b32 s6, s5, s6
	s_delay_alu instid0(VALU_DEP_1) | instskip(SKIP_1) | instid1(VALU_DEP_2)
	v_mul_f32_e32 v61, v63, v61
	v_sub_f32_e32 v63, v74, v146
	v_mul_f32_e32 v61, v59, v61
	s_delay_alu instid0(VALU_DEP_1) | instskip(NEXT) | instid1(VALU_DEP_1)
	v_cndmask_b32_e64 v61, v61, -|v61|, s23
	v_fmac_f32_e32 v113, 0x42340000, v61
	v_fma_f32 v61, -v58, v62, 1.0
	v_cndmask_b32_e64 v62, 0, 1.0, s6
	s_delay_alu instid0(VALU_DEP_2) | instskip(NEXT) | instid1(VALU_DEP_2)
	v_cndmask_b32_e64 v61, v61, 1.0, vcc_lo
	v_mul_f32_e32 v62, v55, v62
	s_delay_alu instid0(VALU_DEP_1) | instskip(SKIP_1) | instid1(VALU_DEP_1)
	v_fmac_f32_e32 v113, v61, v62
	v_dual_sub_f32 v62, v73, v145 :: v_dual_sub_f32 v61, v67, v144
	v_mul_f32_e32 v62, v62, v62
	s_delay_alu instid0(VALU_DEP_1) | instskip(NEXT) | instid1(VALU_DEP_1)
	v_fmac_f32_e32 v62, v61, v61
	v_fmac_f32_e32 v62, v63, v63
	s_delay_alu instid0(VALU_DEP_1) | instskip(SKIP_1) | instid1(VALU_DEP_1)
	v_cmp_gt_f32_e32 vcc_lo, 0xf800000, v62
	v_mul_f32_e32 v61, 0x4f800000, v62
	v_cndmask_b32_e32 v61, v62, v61, vcc_lo
	s_delay_alu instid0(VALU_DEP_1) | instskip(SKIP_2) | instid1(VALU_DEP_1)
	v_sqrt_f32_e32 v62, v61
	s_waitcnt_depctr 0xfff
	v_add_nc_u32_e32 v63, -1, v62
	v_fma_f32 v64, -v63, v62, v61
	s_delay_alu instid0(VALU_DEP_1) | instskip(SKIP_1) | instid1(VALU_DEP_2)
	v_cmp_ge_f32_e64 s6, 0, v64
	v_add_nc_u32_e32 v64, 1, v62
	v_cndmask_b32_e64 v63, v62, v63, s6
	s_delay_alu instid0(VALU_DEP_2) | instskip(NEXT) | instid1(VALU_DEP_1)
	v_fma_f32 v62, -v64, v62, v61
	v_cmp_lt_f32_e64 s6, 0, v62
	s_delay_alu instid0(VALU_DEP_1) | instskip(NEXT) | instid1(VALU_DEP_1)
	v_cndmask_b32_e64 v62, v63, v64, s6
	v_mul_f32_e32 v63, 0x37800000, v62
	s_delay_alu instid0(VALU_DEP_1) | instskip(SKIP_1) | instid1(VALU_DEP_2)
	v_cndmask_b32_e32 v62, v62, v63, vcc_lo
	v_cmp_class_f32_e64 vcc_lo, v61, 0x260
	v_cndmask_b32_e32 v61, v62, v61, vcc_lo
	s_delay_alu instid0(VALU_DEP_1) | instskip(SKIP_1) | instid1(VALU_DEP_2)
	v_sub_f32_e32 v62, v61, v60
	v_fma_f32 v61, -v57, v61, 1.0
	v_cmp_gt_f32_e32 vcc_lo, 0, v62
	v_cmp_lt_f32_e64 s6, v62, v147
	v_cndmask_b32_e64 v63, 0, 0x42980000, vcc_lo
	s_delay_alu instid0(VALU_DEP_1) | instskip(SKIP_1) | instid1(VALU_DEP_4)
	v_fmac_f32_e32 v114, v61, v63
	v_fma_f32 v61, -v56, v62, 1.0
	v_cndmask_b32_e64 v63, 0, 1.0, s6
	v_cmp_lt_f32_e64 s6, v62, v140
	s_delay_alu instid0(VALU_DEP_3) | instskip(NEXT) | instid1(VALU_DEP_2)
	v_cndmask_b32_e64 v61, v61, 1.0, vcc_lo
	s_and_b32 s6, s5, s6
	s_delay_alu instid0(VALU_DEP_1) | instskip(SKIP_1) | instid1(VALU_DEP_2)
	v_mul_f32_e32 v61, v63, v61
	v_sub_f32_e32 v63, v46, v146
	v_mul_f32_e32 v61, v59, v61
	s_delay_alu instid0(VALU_DEP_1) | instskip(NEXT) | instid1(VALU_DEP_1)
	v_cndmask_b32_e64 v61, v61, -|v61|, s23
	v_fmac_f32_e32 v114, 0x42340000, v61
	v_fma_f32 v61, -v58, v62, 1.0
	v_cndmask_b32_e64 v62, 0, 1.0, s6
	s_delay_alu instid0(VALU_DEP_2) | instskip(NEXT) | instid1(VALU_DEP_2)
	v_cndmask_b32_e64 v61, v61, 1.0, vcc_lo
	v_mul_f32_e32 v62, v55, v62
	s_delay_alu instid0(VALU_DEP_1) | instskip(SKIP_1) | instid1(VALU_DEP_1)
	v_dual_fmac_f32 v114, v61, v62 :: v_dual_sub_f32 v61, v76, v144
	v_sub_f32_e32 v62, v77, v145
	v_mul_f32_e32 v62, v62, v62
	s_delay_alu instid0(VALU_DEP_1) | instskip(NEXT) | instid1(VALU_DEP_1)
	v_fmac_f32_e32 v62, v61, v61
	v_fmac_f32_e32 v62, v63, v63
	s_delay_alu instid0(VALU_DEP_1) | instskip(SKIP_1) | instid1(VALU_DEP_1)
	v_cmp_gt_f32_e32 vcc_lo, 0xf800000, v62
	v_mul_f32_e32 v61, 0x4f800000, v62
	v_cndmask_b32_e32 v61, v62, v61, vcc_lo
	s_delay_alu instid0(VALU_DEP_1) | instskip(SKIP_2) | instid1(VALU_DEP_1)
	v_sqrt_f32_e32 v62, v61
	s_waitcnt_depctr 0xfff
	v_add_nc_u32_e32 v63, -1, v62
	v_fma_f32 v64, -v63, v62, v61
	s_delay_alu instid0(VALU_DEP_1) | instskip(SKIP_1) | instid1(VALU_DEP_2)
	v_cmp_ge_f32_e64 s6, 0, v64
	v_add_nc_u32_e32 v64, 1, v62
	v_cndmask_b32_e64 v63, v62, v63, s6
	s_delay_alu instid0(VALU_DEP_2) | instskip(NEXT) | instid1(VALU_DEP_1)
	v_fma_f32 v62, -v64, v62, v61
	v_cmp_lt_f32_e64 s6, 0, v62
	s_delay_alu instid0(VALU_DEP_1) | instskip(NEXT) | instid1(VALU_DEP_1)
	v_cndmask_b32_e64 v62, v63, v64, s6
	v_mul_f32_e32 v63, 0x37800000, v62
	s_delay_alu instid0(VALU_DEP_1) | instskip(SKIP_1) | instid1(VALU_DEP_2)
	v_cndmask_b32_e32 v62, v62, v63, vcc_lo
	v_cmp_class_f32_e64 vcc_lo, v61, 0x260
	v_cndmask_b32_e32 v61, v62, v61, vcc_lo
	s_delay_alu instid0(VALU_DEP_1) | instskip(SKIP_1) | instid1(VALU_DEP_2)
	v_sub_f32_e32 v62, v61, v60
	v_fma_f32 v61, -v57, v61, 1.0
	v_cmp_gt_f32_e32 vcc_lo, 0, v62
	v_cmp_lt_f32_e64 s6, v62, v147
	v_cndmask_b32_e64 v63, 0, 0x42980000, vcc_lo
	s_delay_alu instid0(VALU_DEP_1) | instskip(SKIP_1) | instid1(VALU_DEP_4)
	v_fmac_f32_e32 v115, v61, v63
	v_fma_f32 v61, -v56, v62, 1.0
	v_cndmask_b32_e64 v63, 0, 1.0, s6
	v_cmp_lt_f32_e64 s6, v62, v140
	s_delay_alu instid0(VALU_DEP_3) | instskip(NEXT) | instid1(VALU_DEP_2)
	v_cndmask_b32_e64 v61, v61, 1.0, vcc_lo
	s_and_b32 s6, s5, s6
	s_delay_alu instid0(VALU_DEP_1) | instskip(SKIP_1) | instid1(VALU_DEP_2)
	v_mul_f32_e32 v61, v63, v61
	v_sub_f32_e32 v63, v49, v146
	v_mul_f32_e32 v61, v59, v61
	s_delay_alu instid0(VALU_DEP_1) | instskip(NEXT) | instid1(VALU_DEP_1)
	v_cndmask_b32_e64 v61, v61, -|v61|, s23
	v_fmac_f32_e32 v115, 0x42340000, v61
	v_fma_f32 v61, -v58, v62, 1.0
	v_cndmask_b32_e64 v62, 0, 1.0, s6
	s_delay_alu instid0(VALU_DEP_2) | instskip(NEXT) | instid1(VALU_DEP_2)
	v_cndmask_b32_e64 v61, v61, 1.0, vcc_lo
	v_mul_f32_e32 v62, v55, v62
	s_delay_alu instid0(VALU_DEP_1) | instskip(SKIP_1) | instid1(VALU_DEP_1)
	v_fmac_f32_e32 v115, v61, v62
	v_dual_sub_f32 v62, v29, v145 :: v_dual_sub_f32 v61, v48, v144
	v_mul_f32_e32 v62, v62, v62
	s_delay_alu instid0(VALU_DEP_1) | instskip(NEXT) | instid1(VALU_DEP_1)
	v_fmac_f32_e32 v62, v61, v61
	v_fmac_f32_e32 v62, v63, v63
	s_delay_alu instid0(VALU_DEP_1) | instskip(SKIP_1) | instid1(VALU_DEP_1)
	v_cmp_gt_f32_e32 vcc_lo, 0xf800000, v62
	v_mul_f32_e32 v61, 0x4f800000, v62
	v_cndmask_b32_e32 v61, v62, v61, vcc_lo
	s_delay_alu instid0(VALU_DEP_1) | instskip(SKIP_2) | instid1(VALU_DEP_1)
	v_sqrt_f32_e32 v62, v61
	s_waitcnt_depctr 0xfff
	v_add_nc_u32_e32 v63, -1, v62
	v_fma_f32 v64, -v63, v62, v61
	s_delay_alu instid0(VALU_DEP_1) | instskip(SKIP_1) | instid1(VALU_DEP_2)
	v_cmp_ge_f32_e64 s6, 0, v64
	v_add_nc_u32_e32 v64, 1, v62
	v_cndmask_b32_e64 v63, v62, v63, s6
	s_delay_alu instid0(VALU_DEP_2) | instskip(NEXT) | instid1(VALU_DEP_1)
	v_fma_f32 v62, -v64, v62, v61
	v_cmp_lt_f32_e64 s6, 0, v62
	s_delay_alu instid0(VALU_DEP_1) | instskip(NEXT) | instid1(VALU_DEP_1)
	v_cndmask_b32_e64 v62, v63, v64, s6
	v_mul_f32_e32 v63, 0x37800000, v62
	s_delay_alu instid0(VALU_DEP_1) | instskip(SKIP_1) | instid1(VALU_DEP_2)
	v_cndmask_b32_e32 v62, v62, v63, vcc_lo
	v_cmp_class_f32_e64 vcc_lo, v61, 0x260
	v_cndmask_b32_e32 v61, v62, v61, vcc_lo
	s_delay_alu instid0(VALU_DEP_1) | instskip(SKIP_1) | instid1(VALU_DEP_2)
	v_sub_f32_e32 v62, v61, v60
	v_fma_f32 v61, -v57, v61, 1.0
	v_cmp_gt_f32_e32 vcc_lo, 0, v62
	v_cmp_lt_f32_e64 s6, v62, v147
	v_cndmask_b32_e64 v63, 0, 0x42980000, vcc_lo
	s_delay_alu instid0(VALU_DEP_1) | instskip(SKIP_1) | instid1(VALU_DEP_4)
	v_fmac_f32_e32 v108, v61, v63
	v_fma_f32 v61, -v56, v62, 1.0
	v_cndmask_b32_e64 v63, 0, 1.0, s6
	v_cmp_lt_f32_e64 s6, v62, v140
	s_delay_alu instid0(VALU_DEP_3) | instskip(NEXT) | instid1(VALU_DEP_2)
	v_cndmask_b32_e64 v61, v61, 1.0, vcc_lo
	s_and_b32 s6, s5, s6
	s_delay_alu instid0(VALU_DEP_1) | instskip(SKIP_1) | instid1(VALU_DEP_2)
	v_mul_f32_e32 v61, v63, v61
	v_sub_f32_e32 v63, v20, v146
	v_mul_f32_e32 v61, v59, v61
	s_delay_alu instid0(VALU_DEP_1) | instskip(NEXT) | instid1(VALU_DEP_1)
	v_cndmask_b32_e64 v61, v61, -|v61|, s23
	v_fmac_f32_e32 v108, 0x42340000, v61
	v_fma_f32 v61, -v58, v62, 1.0
	v_cndmask_b32_e64 v62, 0, 1.0, s6
	s_delay_alu instid0(VALU_DEP_2) | instskip(NEXT) | instid1(VALU_DEP_2)
	v_cndmask_b32_e64 v61, v61, 1.0, vcc_lo
	v_mul_f32_e32 v62, v55, v62
	s_delay_alu instid0(VALU_DEP_1) | instskip(SKIP_1) | instid1(VALU_DEP_1)
	v_dual_fmac_f32 v108, v61, v62 :: v_dual_sub_f32 v61, v24, v144
	v_sub_f32_e32 v62, v25, v145
	v_mul_f32_e32 v62, v62, v62
	s_delay_alu instid0(VALU_DEP_1) | instskip(NEXT) | instid1(VALU_DEP_1)
	v_fmac_f32_e32 v62, v61, v61
	v_fmac_f32_e32 v62, v63, v63
	s_delay_alu instid0(VALU_DEP_1) | instskip(SKIP_1) | instid1(VALU_DEP_1)
	v_cmp_gt_f32_e32 vcc_lo, 0xf800000, v62
	v_mul_f32_e32 v61, 0x4f800000, v62
	v_cndmask_b32_e32 v61, v62, v61, vcc_lo
	s_delay_alu instid0(VALU_DEP_1) | instskip(SKIP_2) | instid1(VALU_DEP_1)
	v_sqrt_f32_e32 v62, v61
	s_waitcnt_depctr 0xfff
	v_add_nc_u32_e32 v63, -1, v62
	v_fma_f32 v64, -v63, v62, v61
	s_delay_alu instid0(VALU_DEP_1) | instskip(SKIP_1) | instid1(VALU_DEP_2)
	v_cmp_ge_f32_e64 s6, 0, v64
	v_add_nc_u32_e32 v64, 1, v62
	v_cndmask_b32_e64 v63, v62, v63, s6
	s_delay_alu instid0(VALU_DEP_2) | instskip(NEXT) | instid1(VALU_DEP_1)
	v_fma_f32 v62, -v64, v62, v61
	v_cmp_lt_f32_e64 s6, 0, v62
	s_delay_alu instid0(VALU_DEP_1) | instskip(NEXT) | instid1(VALU_DEP_1)
	v_cndmask_b32_e64 v62, v63, v64, s6
	v_mul_f32_e32 v63, 0x37800000, v62
	s_delay_alu instid0(VALU_DEP_1) | instskip(SKIP_1) | instid1(VALU_DEP_2)
	v_cndmask_b32_e32 v62, v62, v63, vcc_lo
	v_cmp_class_f32_e64 vcc_lo, v61, 0x260
	v_cndmask_b32_e32 v61, v62, v61, vcc_lo
	s_delay_alu instid0(VALU_DEP_1) | instskip(SKIP_1) | instid1(VALU_DEP_2)
	v_sub_f32_e32 v62, v61, v60
	v_fma_f32 v61, -v57, v61, 1.0
	v_cmp_gt_f32_e32 vcc_lo, 0, v62
	v_cmp_lt_f32_e64 s6, v62, v147
	v_cndmask_b32_e64 v63, 0, 0x42980000, vcc_lo
	s_delay_alu instid0(VALU_DEP_1) | instskip(SKIP_1) | instid1(VALU_DEP_4)
	v_fmac_f32_e32 v109, v61, v63
	v_fma_f32 v61, -v56, v62, 1.0
	v_cndmask_b32_e64 v63, 0, 1.0, s6
	v_cmp_lt_f32_e64 s6, v62, v140
	s_delay_alu instid0(VALU_DEP_3) | instskip(NEXT) | instid1(VALU_DEP_2)
	v_cndmask_b32_e64 v61, v61, 1.0, vcc_lo
	s_and_b32 s6, s5, s6
	s_delay_alu instid0(VALU_DEP_1) | instskip(SKIP_1) | instid1(VALU_DEP_2)
	v_mul_f32_e32 v61, v63, v61
	v_sub_f32_e32 v63, v17, v146
	v_mul_f32_e32 v61, v59, v61
	s_delay_alu instid0(VALU_DEP_1) | instskip(NEXT) | instid1(VALU_DEP_1)
	v_cndmask_b32_e64 v61, v61, -|v61|, s23
	v_fmac_f32_e32 v109, 0x42340000, v61
	v_fma_f32 v61, -v58, v62, 1.0
	v_cndmask_b32_e64 v62, 0, 1.0, s6
	s_delay_alu instid0(VALU_DEP_2) | instskip(NEXT) | instid1(VALU_DEP_2)
	v_cndmask_b32_e64 v61, v61, 1.0, vcc_lo
	v_mul_f32_e32 v62, v55, v62
	s_delay_alu instid0(VALU_DEP_1) | instskip(NEXT) | instid1(VALU_DEP_1)
	v_dual_fmac_f32 v109, v61, v62 :: v_dual_sub_f32 v62, v16, v145
	v_dual_sub_f32 v61, v21, v144 :: v_dual_mul_f32 v62, v62, v62
	s_delay_alu instid0(VALU_DEP_1) | instskip(NEXT) | instid1(VALU_DEP_1)
	v_fmac_f32_e32 v62, v61, v61
	v_fmac_f32_e32 v62, v63, v63
	s_delay_alu instid0(VALU_DEP_1) | instskip(SKIP_1) | instid1(VALU_DEP_1)
	v_cmp_gt_f32_e32 vcc_lo, 0xf800000, v62
	v_mul_f32_e32 v61, 0x4f800000, v62
	v_cndmask_b32_e32 v61, v62, v61, vcc_lo
	s_delay_alu instid0(VALU_DEP_1) | instskip(SKIP_2) | instid1(VALU_DEP_1)
	v_sqrt_f32_e32 v62, v61
	s_waitcnt_depctr 0xfff
	v_add_nc_u32_e32 v63, -1, v62
	v_fma_f32 v64, -v63, v62, v61
	s_delay_alu instid0(VALU_DEP_1) | instskip(SKIP_1) | instid1(VALU_DEP_2)
	v_cmp_ge_f32_e64 s6, 0, v64
	v_add_nc_u32_e32 v64, 1, v62
	v_cndmask_b32_e64 v63, v62, v63, s6
	s_delay_alu instid0(VALU_DEP_2) | instskip(NEXT) | instid1(VALU_DEP_1)
	v_fma_f32 v62, -v64, v62, v61
	v_cmp_lt_f32_e64 s6, 0, v62
	s_delay_alu instid0(VALU_DEP_1) | instskip(NEXT) | instid1(VALU_DEP_1)
	v_cndmask_b32_e64 v62, v63, v64, s6
	v_mul_f32_e32 v63, 0x37800000, v62
	s_delay_alu instid0(VALU_DEP_1) | instskip(SKIP_1) | instid1(VALU_DEP_2)
	v_cndmask_b32_e32 v62, v62, v63, vcc_lo
	v_cmp_class_f32_e64 vcc_lo, v61, 0x260
	v_cndmask_b32_e32 v61, v62, v61, vcc_lo
	s_delay_alu instid0(VALU_DEP_1) | instskip(SKIP_1) | instid1(VALU_DEP_2)
	v_sub_f32_e32 v62, v61, v60
	v_fma_f32 v61, -v57, v61, 1.0
	v_cmp_gt_f32_e32 vcc_lo, 0, v62
	v_cmp_lt_f32_e64 s6, v62, v147
	v_cndmask_b32_e64 v63, 0, 0x42980000, vcc_lo
	s_delay_alu instid0(VALU_DEP_1) | instskip(SKIP_1) | instid1(VALU_DEP_4)
	v_fmac_f32_e32 v110, v61, v63
	v_fma_f32 v61, -v56, v62, 1.0
	v_cndmask_b32_e64 v63, 0, 1.0, s6
	v_cmp_lt_f32_e64 s6, v62, v140
	s_delay_alu instid0(VALU_DEP_3) | instskip(NEXT) | instid1(VALU_DEP_2)
	v_cndmask_b32_e64 v61, v61, 1.0, vcc_lo
	s_and_b32 s6, s5, s6
	s_delay_alu instid0(VALU_DEP_1) | instskip(SKIP_1) | instid1(VALU_DEP_2)
	v_mul_f32_e32 v61, v63, v61
	v_sub_f32_e32 v63, v15, v146
	v_mul_f32_e32 v61, v59, v61
	s_delay_alu instid0(VALU_DEP_1) | instskip(NEXT) | instid1(VALU_DEP_1)
	v_cndmask_b32_e64 v61, v61, -|v61|, s23
	v_fmac_f32_e32 v110, 0x42340000, v61
	v_fma_f32 v61, -v58, v62, 1.0
	v_cndmask_b32_e64 v62, 0, 1.0, s6
	s_delay_alu instid0(VALU_DEP_2) | instskip(NEXT) | instid1(VALU_DEP_2)
	v_cndmask_b32_e64 v61, v61, 1.0, vcc_lo
	v_mul_f32_e32 v62, v55, v62
	s_delay_alu instid0(VALU_DEP_1) | instskip(SKIP_1) | instid1(VALU_DEP_1)
	v_dual_fmac_f32 v110, v61, v62 :: v_dual_sub_f32 v61, v12, v144
	v_sub_f32_e32 v62, v13, v145
	v_mul_f32_e32 v62, v62, v62
	s_delay_alu instid0(VALU_DEP_1) | instskip(NEXT) | instid1(VALU_DEP_1)
	v_fmac_f32_e32 v62, v61, v61
	v_fmac_f32_e32 v62, v63, v63
	s_delay_alu instid0(VALU_DEP_1) | instskip(SKIP_1) | instid1(VALU_DEP_1)
	v_cmp_gt_f32_e32 vcc_lo, 0xf800000, v62
	v_mul_f32_e32 v61, 0x4f800000, v62
	v_cndmask_b32_e32 v61, v62, v61, vcc_lo
	s_delay_alu instid0(VALU_DEP_1) | instskip(SKIP_2) | instid1(VALU_DEP_1)
	v_sqrt_f32_e32 v62, v61
	s_waitcnt_depctr 0xfff
	v_add_nc_u32_e32 v63, -1, v62
	v_fma_f32 v64, -v63, v62, v61
	s_delay_alu instid0(VALU_DEP_1) | instskip(SKIP_1) | instid1(VALU_DEP_2)
	v_cmp_ge_f32_e64 s6, 0, v64
	v_add_nc_u32_e32 v64, 1, v62
	v_cndmask_b32_e64 v63, v62, v63, s6
	s_delay_alu instid0(VALU_DEP_2) | instskip(NEXT) | instid1(VALU_DEP_1)
	v_fma_f32 v62, -v64, v62, v61
	v_cmp_lt_f32_e64 s6, 0, v62
	s_delay_alu instid0(VALU_DEP_1) | instskip(NEXT) | instid1(VALU_DEP_1)
	v_cndmask_b32_e64 v62, v63, v64, s6
	v_mul_f32_e32 v63, 0x37800000, v62
	s_delay_alu instid0(VALU_DEP_1) | instskip(SKIP_1) | instid1(VALU_DEP_2)
	v_cndmask_b32_e32 v62, v62, v63, vcc_lo
	v_cmp_class_f32_e64 vcc_lo, v61, 0x260
	v_cndmask_b32_e32 v61, v62, v61, vcc_lo
	s_delay_alu instid0(VALU_DEP_1) | instskip(SKIP_1) | instid1(VALU_DEP_2)
	v_sub_f32_e32 v62, v61, v60
	v_fma_f32 v61, -v57, v61, 1.0
	v_cmp_gt_f32_e32 vcc_lo, 0, v62
	v_cmp_lt_f32_e64 s6, v62, v147
	v_cndmask_b32_e64 v63, 0, 0x42980000, vcc_lo
	s_delay_alu instid0(VALU_DEP_1) | instskip(SKIP_1) | instid1(VALU_DEP_4)
	v_fmac_f32_e32 v111, v61, v63
	v_fma_f32 v61, -v56, v62, 1.0
	v_cndmask_b32_e64 v63, 0, 1.0, s6
	v_cmp_lt_f32_e64 s6, v62, v140
	s_delay_alu instid0(VALU_DEP_3) | instskip(NEXT) | instid1(VALU_DEP_2)
	v_cndmask_b32_e64 v61, v61, 1.0, vcc_lo
	s_and_b32 s6, s5, s6
	s_delay_alu instid0(VALU_DEP_1) | instskip(SKIP_1) | instid1(VALU_DEP_2)
	v_mul_f32_e32 v61, v63, v61
	v_sub_f32_e32 v63, v0, v146
	v_mul_f32_e32 v61, v59, v61
	s_delay_alu instid0(VALU_DEP_1) | instskip(NEXT) | instid1(VALU_DEP_1)
	v_cndmask_b32_e64 v61, v61, -|v61|, s23
	v_fmac_f32_e32 v111, 0x42340000, v61
	v_fma_f32 v61, -v58, v62, 1.0
	v_cndmask_b32_e64 v62, 0, 1.0, s6
	s_delay_alu instid0(VALU_DEP_2) | instskip(NEXT) | instid1(VALU_DEP_2)
	v_cndmask_b32_e64 v61, v61, 1.0, vcc_lo
	v_mul_f32_e32 v62, v55, v62
	s_delay_alu instid0(VALU_DEP_1) | instskip(SKIP_1) | instid1(VALU_DEP_1)
	v_fmac_f32_e32 v111, v61, v62
	v_dual_sub_f32 v62, v45, v145 :: v_dual_sub_f32 v61, v8, v144
	v_mul_f32_e32 v62, v62, v62
	s_delay_alu instid0(VALU_DEP_1) | instskip(NEXT) | instid1(VALU_DEP_1)
	v_fmac_f32_e32 v62, v61, v61
	v_fmac_f32_e32 v62, v63, v63
	s_delay_alu instid0(VALU_DEP_1) | instskip(SKIP_1) | instid1(VALU_DEP_1)
	v_cmp_gt_f32_e32 vcc_lo, 0xf800000, v62
	v_mul_f32_e32 v61, 0x4f800000, v62
	v_cndmask_b32_e32 v61, v62, v61, vcc_lo
	s_delay_alu instid0(VALU_DEP_1) | instskip(SKIP_2) | instid1(VALU_DEP_1)
	v_sqrt_f32_e32 v62, v61
	s_waitcnt_depctr 0xfff
	v_add_nc_u32_e32 v63, -1, v62
	v_fma_f32 v64, -v63, v62, v61
	s_delay_alu instid0(VALU_DEP_1) | instskip(SKIP_1) | instid1(VALU_DEP_2)
	v_cmp_ge_f32_e64 s6, 0, v64
	v_add_nc_u32_e32 v64, 1, v62
	v_cndmask_b32_e64 v63, v62, v63, s6
	s_delay_alu instid0(VALU_DEP_2) | instskip(NEXT) | instid1(VALU_DEP_1)
	v_fma_f32 v62, -v64, v62, v61
	v_cmp_lt_f32_e64 s6, 0, v62
	s_delay_alu instid0(VALU_DEP_1) | instskip(NEXT) | instid1(VALU_DEP_1)
	v_cndmask_b32_e64 v62, v63, v64, s6
	v_mul_f32_e32 v63, 0x37800000, v62
	s_delay_alu instid0(VALU_DEP_1) | instskip(SKIP_1) | instid1(VALU_DEP_2)
	v_cndmask_b32_e32 v62, v62, v63, vcc_lo
	v_cmp_class_f32_e64 vcc_lo, v61, 0x260
	v_cndmask_b32_e32 v61, v62, v61, vcc_lo
	s_delay_alu instid0(VALU_DEP_1) | instskip(SKIP_1) | instid1(VALU_DEP_2)
	v_sub_f32_e32 v62, v61, v60
	v_fma_f32 v61, -v57, v61, 1.0
	v_cmp_gt_f32_e32 vcc_lo, 0, v62
	v_cmp_lt_f32_e64 s6, v62, v147
	v_cndmask_b32_e64 v63, 0, 0x42980000, vcc_lo
	s_delay_alu instid0(VALU_DEP_1) | instskip(SKIP_1) | instid1(VALU_DEP_4)
	v_fmac_f32_e32 v136, v61, v63
	v_fma_f32 v61, -v56, v62, 1.0
	v_cndmask_b32_e64 v63, 0, 1.0, s6
	v_cmp_lt_f32_e64 s6, v62, v140
	s_delay_alu instid0(VALU_DEP_3) | instskip(NEXT) | instid1(VALU_DEP_2)
	v_cndmask_b32_e64 v61, v61, 1.0, vcc_lo
	s_and_b32 s6, s5, s6
	s_delay_alu instid0(VALU_DEP_1) | instskip(SKIP_1) | instid1(VALU_DEP_2)
	v_mul_f32_e32 v61, v63, v61
	v_sub_f32_e32 v63, v3, v146
	v_mul_f32_e32 v61, v59, v61
	s_delay_alu instid0(VALU_DEP_1) | instskip(NEXT) | instid1(VALU_DEP_1)
	v_cndmask_b32_e64 v61, v61, -|v61|, s23
	v_fmac_f32_e32 v136, 0x42340000, v61
	v_fma_f32 v61, -v58, v62, 1.0
	v_cndmask_b32_e64 v62, 0, 1.0, s6
	s_delay_alu instid0(VALU_DEP_2) | instskip(NEXT) | instid1(VALU_DEP_2)
	v_cndmask_b32_e64 v61, v61, 1.0, vcc_lo
	v_mul_f32_e32 v62, v55, v62
	s_delay_alu instid0(VALU_DEP_1) | instskip(SKIP_1) | instid1(VALU_DEP_1)
	v_fmac_f32_e32 v136, v61, v62
	v_dual_sub_f32 v62, v2, v145 :: v_dual_sub_f32 v61, v1, v144
	v_mul_f32_e32 v62, v62, v62
	s_delay_alu instid0(VALU_DEP_1) | instskip(NEXT) | instid1(VALU_DEP_1)
	v_fmac_f32_e32 v62, v61, v61
	v_fmac_f32_e32 v62, v63, v63
	s_delay_alu instid0(VALU_DEP_1) | instskip(SKIP_1) | instid1(VALU_DEP_1)
	v_cmp_gt_f32_e32 vcc_lo, 0xf800000, v62
	v_mul_f32_e32 v61, 0x4f800000, v62
	v_cndmask_b32_e32 v61, v62, v61, vcc_lo
	s_delay_alu instid0(VALU_DEP_1) | instskip(SKIP_2) | instid1(VALU_DEP_1)
	v_sqrt_f32_e32 v62, v61
	s_waitcnt_depctr 0xfff
	v_add_nc_u32_e32 v63, -1, v62
	v_fma_f32 v64, -v63, v62, v61
	s_delay_alu instid0(VALU_DEP_1) | instskip(SKIP_1) | instid1(VALU_DEP_2)
	v_cmp_ge_f32_e64 s6, 0, v64
	v_add_nc_u32_e32 v64, 1, v62
	v_cndmask_b32_e64 v63, v62, v63, s6
	s_delay_alu instid0(VALU_DEP_2) | instskip(NEXT) | instid1(VALU_DEP_1)
	v_fma_f32 v62, -v64, v62, v61
	v_cmp_lt_f32_e64 s6, 0, v62
	s_delay_alu instid0(VALU_DEP_1) | instskip(NEXT) | instid1(VALU_DEP_1)
	v_cndmask_b32_e64 v62, v63, v64, s6
	v_mul_f32_e32 v63, 0x37800000, v62
	s_delay_alu instid0(VALU_DEP_1) | instskip(SKIP_1) | instid1(VALU_DEP_2)
	v_cndmask_b32_e32 v62, v62, v63, vcc_lo
	v_cmp_class_f32_e64 vcc_lo, v61, 0x260
	v_cndmask_b32_e32 v61, v62, v61, vcc_lo
	s_delay_alu instid0(VALU_DEP_1) | instskip(SKIP_1) | instid1(VALU_DEP_2)
	v_sub_f32_e32 v62, v61, v60
	v_fma_f32 v61, -v57, v61, 1.0
	v_cmp_gt_f32_e32 vcc_lo, 0, v62
	v_cmp_lt_f32_e64 s6, v62, v147
	v_cndmask_b32_e64 v63, 0, 0x42980000, vcc_lo
	s_delay_alu instid0(VALU_DEP_1) | instskip(SKIP_1) | instid1(VALU_DEP_4)
	v_fmac_f32_e32 v137, v61, v63
	v_fma_f32 v61, -v56, v62, 1.0
	v_cndmask_b32_e64 v63, 0, 1.0, s6
	v_cmp_lt_f32_e64 s6, v62, v140
	s_delay_alu instid0(VALU_DEP_3) | instskip(NEXT) | instid1(VALU_DEP_2)
	v_cndmask_b32_e64 v61, v61, 1.0, vcc_lo
	s_and_b32 s6, s5, s6
	s_delay_alu instid0(VALU_DEP_1) | instskip(SKIP_1) | instid1(VALU_DEP_2)
	v_mul_f32_e32 v61, v63, v61
	v_sub_f32_e32 v63, v6, v146
	v_mul_f32_e32 v61, v59, v61
	s_delay_alu instid0(VALU_DEP_1) | instskip(NEXT) | instid1(VALU_DEP_1)
	v_cndmask_b32_e64 v61, v61, -|v61|, s23
	v_fmac_f32_e32 v137, 0x42340000, v61
	v_fma_f32 v61, -v58, v62, 1.0
	v_cndmask_b32_e64 v62, 0, 1.0, s6
	s_delay_alu instid0(VALU_DEP_2) | instskip(NEXT) | instid1(VALU_DEP_2)
	v_cndmask_b32_e64 v61, v61, 1.0, vcc_lo
	v_mul_f32_e32 v62, v55, v62
	s_delay_alu instid0(VALU_DEP_1) | instskip(NEXT) | instid1(VALU_DEP_1)
	v_dual_fmac_f32 v137, v61, v62 :: v_dual_sub_f32 v62, v7, v145
	v_dual_sub_f32 v61, v5, v144 :: v_dual_mul_f32 v62, v62, v62
	s_delay_alu instid0(VALU_DEP_1) | instskip(NEXT) | instid1(VALU_DEP_1)
	v_fmac_f32_e32 v62, v61, v61
	v_fmac_f32_e32 v62, v63, v63
	s_delay_alu instid0(VALU_DEP_1) | instskip(SKIP_1) | instid1(VALU_DEP_1)
	v_cmp_gt_f32_e32 vcc_lo, 0xf800000, v62
	v_mul_f32_e32 v61, 0x4f800000, v62
	v_cndmask_b32_e32 v61, v62, v61, vcc_lo
	s_delay_alu instid0(VALU_DEP_1) | instskip(SKIP_2) | instid1(VALU_DEP_1)
	v_sqrt_f32_e32 v62, v61
	s_waitcnt_depctr 0xfff
	v_add_nc_u32_e32 v63, -1, v62
	v_fma_f32 v64, -v63, v62, v61
	s_delay_alu instid0(VALU_DEP_1) | instskip(SKIP_1) | instid1(VALU_DEP_2)
	v_cmp_ge_f32_e64 s6, 0, v64
	v_add_nc_u32_e32 v64, 1, v62
	v_cndmask_b32_e64 v63, v62, v63, s6
	s_delay_alu instid0(VALU_DEP_2) | instskip(NEXT) | instid1(VALU_DEP_1)
	v_fma_f32 v62, -v64, v62, v61
	v_cmp_lt_f32_e64 s6, 0, v62
	s_delay_alu instid0(VALU_DEP_1) | instskip(NEXT) | instid1(VALU_DEP_1)
	v_cndmask_b32_e64 v62, v63, v64, s6
	v_mul_f32_e32 v63, 0x37800000, v62
	s_delay_alu instid0(VALU_DEP_1) | instskip(SKIP_1) | instid1(VALU_DEP_2)
	v_cndmask_b32_e32 v62, v62, v63, vcc_lo
	v_cmp_class_f32_e64 vcc_lo, v61, 0x260
	v_cndmask_b32_e32 v61, v62, v61, vcc_lo
	s_delay_alu instid0(VALU_DEP_1) | instskip(SKIP_1) | instid1(VALU_DEP_2)
	v_sub_f32_e32 v62, v61, v60
	v_fma_f32 v61, -v57, v61, 1.0
	v_cmp_gt_f32_e32 vcc_lo, 0, v62
	v_cmp_lt_f32_e64 s6, v62, v147
	v_cndmask_b32_e64 v63, 0, 0x42980000, vcc_lo
	s_delay_alu instid0(VALU_DEP_1) | instskip(SKIP_1) | instid1(VALU_DEP_4)
	v_fmac_f32_e32 v138, v61, v63
	v_fma_f32 v61, -v56, v62, 1.0
	v_cndmask_b32_e64 v63, 0, 1.0, s6
	v_cmp_lt_f32_e64 s6, v62, v140
	s_delay_alu instid0(VALU_DEP_3) | instskip(NEXT) | instid1(VALU_DEP_2)
	v_cndmask_b32_e64 v61, v61, 1.0, vcc_lo
	s_and_b32 s6, s5, s6
	s_delay_alu instid0(VALU_DEP_1) | instskip(SKIP_1) | instid1(VALU_DEP_2)
	v_mul_f32_e32 v61, v63, v61
	v_sub_f32_e32 v63, v190, v146
	v_mul_f32_e32 v61, v59, v61
	s_delay_alu instid0(VALU_DEP_1) | instskip(NEXT) | instid1(VALU_DEP_1)
	v_cndmask_b32_e64 v61, v61, -|v61|, s23
	v_fmac_f32_e32 v138, 0x42340000, v61
	v_fma_f32 v61, -v58, v62, 1.0
	v_cndmask_b32_e64 v62, 0, 1.0, s6
	s_delay_alu instid0(VALU_DEP_2) | instskip(NEXT) | instid1(VALU_DEP_2)
	v_cndmask_b32_e64 v61, v61, 1.0, vcc_lo
	v_mul_f32_e32 v62, v55, v62
	s_delay_alu instid0(VALU_DEP_1) | instskip(SKIP_1) | instid1(VALU_DEP_1)
	v_fmac_f32_e32 v138, v61, v62
	v_dual_sub_f32 v62, v10, v145 :: v_dual_sub_f32 v61, v9, v144
	v_mul_f32_e32 v62, v62, v62
	s_delay_alu instid0(VALU_DEP_1) | instskip(NEXT) | instid1(VALU_DEP_1)
	v_fmac_f32_e32 v62, v61, v61
	v_fmac_f32_e32 v62, v63, v63
	s_delay_alu instid0(VALU_DEP_1) | instskip(SKIP_1) | instid1(VALU_DEP_1)
	v_cmp_gt_f32_e32 vcc_lo, 0xf800000, v62
	v_mul_f32_e32 v61, 0x4f800000, v62
	v_cndmask_b32_e32 v61, v62, v61, vcc_lo
	s_delay_alu instid0(VALU_DEP_1) | instskip(SKIP_2) | instid1(VALU_DEP_1)
	v_sqrt_f32_e32 v62, v61
	s_waitcnt_depctr 0xfff
	v_add_nc_u32_e32 v63, -1, v62
	v_fma_f32 v64, -v63, v62, v61
	s_delay_alu instid0(VALU_DEP_1) | instskip(SKIP_1) | instid1(VALU_DEP_2)
	v_cmp_ge_f32_e64 s6, 0, v64
	v_add_nc_u32_e32 v64, 1, v62
	v_cndmask_b32_e64 v63, v62, v63, s6
	s_delay_alu instid0(VALU_DEP_2) | instskip(NEXT) | instid1(VALU_DEP_1)
	v_fma_f32 v62, -v64, v62, v61
	v_cmp_lt_f32_e64 s6, 0, v62
	s_delay_alu instid0(VALU_DEP_1) | instskip(NEXT) | instid1(VALU_DEP_1)
	v_cndmask_b32_e64 v62, v63, v64, s6
	v_mul_f32_e32 v63, 0x37800000, v62
	s_delay_alu instid0(VALU_DEP_1) | instskip(SKIP_1) | instid1(VALU_DEP_2)
	v_cndmask_b32_e32 v62, v62, v63, vcc_lo
	v_cmp_class_f32_e64 vcc_lo, v61, 0x260
	v_cndmask_b32_e32 v61, v62, v61, vcc_lo
	s_delay_alu instid0(VALU_DEP_1) | instskip(SKIP_1) | instid1(VALU_DEP_2)
	v_sub_f32_e32 v62, v61, v60
	v_fma_f32 v61, -v57, v61, 1.0
	v_cmp_gt_f32_e32 vcc_lo, 0, v62
	v_cmp_lt_f32_e64 s6, v62, v147
	v_cndmask_b32_e64 v63, 0, 0x42980000, vcc_lo
	s_delay_alu instid0(VALU_DEP_1) | instskip(SKIP_1) | instid1(VALU_DEP_4)
	v_fmac_f32_e32 v139, v61, v63
	v_fma_f32 v61, -v56, v62, 1.0
	v_cndmask_b32_e64 v63, 0, 1.0, s6
	v_cmp_lt_f32_e64 s6, v62, v140
	s_delay_alu instid0(VALU_DEP_3) | instskip(NEXT) | instid1(VALU_DEP_2)
	v_cndmask_b32_e64 v61, v61, 1.0, vcc_lo
	s_and_b32 s6, s5, s6
	s_delay_alu instid0(VALU_DEP_1) | instskip(SKIP_1) | instid1(VALU_DEP_2)
	v_mul_f32_e32 v61, v63, v61
	v_sub_f32_e32 v63, v19, v146
	v_mul_f32_e32 v61, v59, v61
	s_delay_alu instid0(VALU_DEP_1) | instskip(NEXT) | instid1(VALU_DEP_1)
	v_cndmask_b32_e64 v61, v61, -|v61|, s23
	v_fmac_f32_e32 v139, 0x42340000, v61
	v_fma_f32 v61, -v58, v62, 1.0
	v_cndmask_b32_e64 v62, 0, 1.0, s6
	s_delay_alu instid0(VALU_DEP_2) | instskip(NEXT) | instid1(VALU_DEP_2)
	v_cndmask_b32_e64 v61, v61, 1.0, vcc_lo
	v_mul_f32_e32 v62, v55, v62
	s_delay_alu instid0(VALU_DEP_1) | instskip(SKIP_1) | instid1(VALU_DEP_2)
	v_dual_fmac_f32 v139, v61, v62 :: v_dual_sub_f32 v62, v18, v145
	v_sub_f32_e32 v61, v14, v144
	v_mul_f32_e32 v62, v62, v62
	s_delay_alu instid0(VALU_DEP_1) | instskip(NEXT) | instid1(VALU_DEP_1)
	v_fmac_f32_e32 v62, v61, v61
	v_fmac_f32_e32 v62, v63, v63
	s_delay_alu instid0(VALU_DEP_1) | instskip(SKIP_1) | instid1(VALU_DEP_1)
	v_cmp_gt_f32_e32 vcc_lo, 0xf800000, v62
	v_mul_f32_e32 v61, 0x4f800000, v62
	v_cndmask_b32_e32 v61, v62, v61, vcc_lo
	s_delay_alu instid0(VALU_DEP_1) | instskip(SKIP_2) | instid1(VALU_DEP_1)
	v_sqrt_f32_e32 v62, v61
	s_waitcnt_depctr 0xfff
	v_add_nc_u32_e32 v63, -1, v62
	v_fma_f32 v64, -v63, v62, v61
	s_delay_alu instid0(VALU_DEP_1) | instskip(SKIP_1) | instid1(VALU_DEP_2)
	v_cmp_ge_f32_e64 s6, 0, v64
	v_add_nc_u32_e32 v64, 1, v62
	v_cndmask_b32_e64 v63, v62, v63, s6
	s_delay_alu instid0(VALU_DEP_2) | instskip(NEXT) | instid1(VALU_DEP_1)
	v_fma_f32 v62, -v64, v62, v61
	v_cmp_lt_f32_e64 s6, 0, v62
	s_delay_alu instid0(VALU_DEP_1) | instskip(NEXT) | instid1(VALU_DEP_1)
	v_cndmask_b32_e64 v62, v63, v64, s6
	v_mul_f32_e32 v63, 0x37800000, v62
	s_delay_alu instid0(VALU_DEP_1) | instskip(SKIP_1) | instid1(VALU_DEP_2)
	v_cndmask_b32_e32 v62, v62, v63, vcc_lo
	v_cmp_class_f32_e64 vcc_lo, v61, 0x260
	v_cndmask_b32_e32 v61, v62, v61, vcc_lo
	s_delay_alu instid0(VALU_DEP_1) | instskip(SKIP_1) | instid1(VALU_DEP_2)
	v_sub_f32_e32 v62, v61, v60
	v_fma_f32 v61, -v57, v61, 1.0
	v_cmp_gt_f32_e32 vcc_lo, 0, v62
	v_cmp_lt_f32_e64 s6, v62, v147
	v_cndmask_b32_e64 v63, 0, 0x42980000, vcc_lo
	s_delay_alu instid0(VALU_DEP_1) | instskip(SKIP_1) | instid1(VALU_DEP_4)
	v_fmac_f32_e32 v132, v61, v63
	v_fma_f32 v61, -v56, v62, 1.0
	v_cndmask_b32_e64 v63, 0, 1.0, s6
	v_cmp_lt_f32_e64 s6, v62, v140
	s_delay_alu instid0(VALU_DEP_3) | instskip(NEXT) | instid1(VALU_DEP_2)
	v_cndmask_b32_e64 v61, v61, 1.0, vcc_lo
	s_and_b32 s6, s5, s6
	s_delay_alu instid0(VALU_DEP_1) | instskip(SKIP_1) | instid1(VALU_DEP_2)
	v_mul_f32_e32 v61, v63, v61
	v_sub_f32_e32 v63, v26, v146
	v_mul_f32_e32 v61, v59, v61
	s_delay_alu instid0(VALU_DEP_1) | instskip(NEXT) | instid1(VALU_DEP_1)
	v_cndmask_b32_e64 v61, v61, -|v61|, s23
	v_fmac_f32_e32 v132, 0x42340000, v61
	v_fma_f32 v61, -v58, v62, 1.0
	v_cndmask_b32_e64 v62, 0, 1.0, s6
	s_delay_alu instid0(VALU_DEP_2) | instskip(NEXT) | instid1(VALU_DEP_2)
	v_cndmask_b32_e64 v61, v61, 1.0, vcc_lo
	v_mul_f32_e32 v62, v55, v62
	s_delay_alu instid0(VALU_DEP_1) | instskip(SKIP_1) | instid1(VALU_DEP_1)
	v_dual_fmac_f32 v132, v61, v62 :: v_dual_sub_f32 v61, v22, v144
	v_sub_f32_e32 v62, v23, v145
	v_mul_f32_e32 v62, v62, v62
	s_delay_alu instid0(VALU_DEP_1) | instskip(NEXT) | instid1(VALU_DEP_1)
	v_fmac_f32_e32 v62, v61, v61
	v_fmac_f32_e32 v62, v63, v63
	s_delay_alu instid0(VALU_DEP_1) | instskip(SKIP_1) | instid1(VALU_DEP_1)
	v_cmp_gt_f32_e32 vcc_lo, 0xf800000, v62
	v_mul_f32_e32 v61, 0x4f800000, v62
	v_cndmask_b32_e32 v61, v62, v61, vcc_lo
	s_delay_alu instid0(VALU_DEP_1) | instskip(SKIP_2) | instid1(VALU_DEP_1)
	v_sqrt_f32_e32 v62, v61
	s_waitcnt_depctr 0xfff
	v_add_nc_u32_e32 v63, -1, v62
	v_fma_f32 v64, -v63, v62, v61
	s_delay_alu instid0(VALU_DEP_1) | instskip(SKIP_1) | instid1(VALU_DEP_2)
	v_cmp_ge_f32_e64 s6, 0, v64
	v_add_nc_u32_e32 v64, 1, v62
	v_cndmask_b32_e64 v63, v62, v63, s6
	s_delay_alu instid0(VALU_DEP_2) | instskip(NEXT) | instid1(VALU_DEP_1)
	v_fma_f32 v62, -v64, v62, v61
	v_cmp_lt_f32_e64 s6, 0, v62
	s_delay_alu instid0(VALU_DEP_1) | instskip(NEXT) | instid1(VALU_DEP_1)
	v_cndmask_b32_e64 v62, v63, v64, s6
	v_mul_f32_e32 v63, 0x37800000, v62
	s_delay_alu instid0(VALU_DEP_1) | instskip(SKIP_1) | instid1(VALU_DEP_2)
	v_cndmask_b32_e32 v62, v62, v63, vcc_lo
	v_cmp_class_f32_e64 vcc_lo, v61, 0x260
	v_cndmask_b32_e32 v61, v62, v61, vcc_lo
	s_delay_alu instid0(VALU_DEP_1) | instskip(SKIP_1) | instid1(VALU_DEP_2)
	v_sub_f32_e32 v62, v61, v60
	v_fma_f32 v61, -v57, v61, 1.0
	v_cmp_gt_f32_e32 vcc_lo, 0, v62
	v_cmp_lt_f32_e64 s6, v62, v147
	v_cndmask_b32_e64 v63, 0, 0x42980000, vcc_lo
	s_delay_alu instid0(VALU_DEP_1) | instskip(SKIP_1) | instid1(VALU_DEP_4)
	v_fmac_f32_e32 v133, v61, v63
	v_fma_f32 v61, -v56, v62, 1.0
	v_cndmask_b32_e64 v63, 0, 1.0, s6
	v_cmp_lt_f32_e64 s6, v62, v140
	s_delay_alu instid0(VALU_DEP_3) | instskip(NEXT) | instid1(VALU_DEP_2)
	v_cndmask_b32_e64 v61, v61, 1.0, vcc_lo
	s_and_b32 s6, s5, s6
	s_delay_alu instid0(VALU_DEP_1) | instskip(SKIP_1) | instid1(VALU_DEP_2)
	v_mul_f32_e32 v61, v63, v61
	v_sub_f32_e32 v63, v30, v146
	v_mul_f32_e32 v61, v59, v61
	s_delay_alu instid0(VALU_DEP_1) | instskip(NEXT) | instid1(VALU_DEP_1)
	v_cndmask_b32_e64 v61, v61, -|v61|, s23
	v_fmac_f32_e32 v133, 0x42340000, v61
	v_fma_f32 v61, -v58, v62, 1.0
	v_cndmask_b32_e64 v62, 0, 1.0, s6
	s_delay_alu instid0(VALU_DEP_2) | instskip(NEXT) | instid1(VALU_DEP_2)
	v_cndmask_b32_e64 v61, v61, 1.0, vcc_lo
	v_mul_f32_e32 v62, v55, v62
	s_delay_alu instid0(VALU_DEP_1) | instskip(NEXT) | instid1(VALU_DEP_1)
	v_dual_fmac_f32 v133, v61, v62 :: v_dual_sub_f32 v62, v28, v145
	v_dual_sub_f32 v61, v27, v144 :: v_dual_mul_f32 v62, v62, v62
	s_delay_alu instid0(VALU_DEP_1) | instskip(NEXT) | instid1(VALU_DEP_1)
	v_fmac_f32_e32 v62, v61, v61
	v_fmac_f32_e32 v62, v63, v63
	s_delay_alu instid0(VALU_DEP_1) | instskip(SKIP_1) | instid1(VALU_DEP_1)
	v_cmp_gt_f32_e32 vcc_lo, 0xf800000, v62
	v_mul_f32_e32 v61, 0x4f800000, v62
	v_cndmask_b32_e32 v61, v62, v61, vcc_lo
	s_delay_alu instid0(VALU_DEP_1) | instskip(SKIP_2) | instid1(VALU_DEP_1)
	v_sqrt_f32_e32 v62, v61
	s_waitcnt_depctr 0xfff
	v_add_nc_u32_e32 v63, -1, v62
	v_fma_f32 v64, -v63, v62, v61
	s_delay_alu instid0(VALU_DEP_1) | instskip(SKIP_1) | instid1(VALU_DEP_2)
	v_cmp_ge_f32_e64 s6, 0, v64
	v_add_nc_u32_e32 v64, 1, v62
	v_cndmask_b32_e64 v63, v62, v63, s6
	s_delay_alu instid0(VALU_DEP_2) | instskip(NEXT) | instid1(VALU_DEP_1)
	v_fma_f32 v62, -v64, v62, v61
	v_cmp_lt_f32_e64 s6, 0, v62
	s_delay_alu instid0(VALU_DEP_1) | instskip(NEXT) | instid1(VALU_DEP_1)
	v_cndmask_b32_e64 v62, v63, v64, s6
	v_mul_f32_e32 v63, 0x37800000, v62
	s_delay_alu instid0(VALU_DEP_1) | instskip(SKIP_1) | instid1(VALU_DEP_2)
	v_cndmask_b32_e32 v62, v62, v63, vcc_lo
	v_cmp_class_f32_e64 vcc_lo, v61, 0x260
	v_cndmask_b32_e32 v61, v62, v61, vcc_lo
	s_delay_alu instid0(VALU_DEP_1) | instskip(SKIP_1) | instid1(VALU_DEP_2)
	v_sub_f32_e32 v62, v61, v60
	v_fma_f32 v61, -v57, v61, 1.0
	v_cmp_gt_f32_e32 vcc_lo, 0, v62
	v_cmp_lt_f32_e64 s6, v62, v147
	v_cndmask_b32_e64 v63, 0, 0x42980000, vcc_lo
	s_delay_alu instid0(VALU_DEP_1) | instskip(SKIP_1) | instid1(VALU_DEP_4)
	v_fmac_f32_e32 v134, v61, v63
	v_fma_f32 v61, -v56, v62, 1.0
	v_cndmask_b32_e64 v63, 0, 1.0, s6
	v_cmp_lt_f32_e64 s6, v62, v140
	s_delay_alu instid0(VALU_DEP_3) | instskip(NEXT) | instid1(VALU_DEP_2)
	v_cndmask_b32_e64 v61, v61, 1.0, vcc_lo
	s_and_b32 s6, s5, s6
	s_delay_alu instid0(VALU_DEP_1) | instskip(SKIP_1) | instid1(VALU_DEP_2)
	v_mul_f32_e32 v61, v63, v61
	v_sub_f32_e32 v63, v32, v145
	v_mul_f32_e32 v61, v59, v61
	s_delay_alu instid0(VALU_DEP_2) | instskip(NEXT) | instid1(VALU_DEP_2)
	v_mul_f32_e32 v63, v63, v63
	v_cndmask_b32_e64 v61, v61, -|v61|, s23
	s_delay_alu instid0(VALU_DEP_1) | instskip(SKIP_2) | instid1(VALU_DEP_2)
	v_fmac_f32_e32 v134, 0x42340000, v61
	v_fma_f32 v61, -v58, v62, 1.0
	v_cndmask_b32_e64 v62, 0, 1.0, s6
	v_cndmask_b32_e64 v61, v61, 1.0, vcc_lo
	s_delay_alu instid0(VALU_DEP_2) | instskip(NEXT) | instid1(VALU_DEP_1)
	v_mul_f32_e32 v62, v55, v62
	v_fmac_f32_e32 v134, v61, v62
	v_dual_sub_f32 v62, v191, v144 :: v_dual_sub_f32 v61, v33, v146
	s_delay_alu instid0(VALU_DEP_1) | instskip(NEXT) | instid1(VALU_DEP_1)
	v_fmac_f32_e32 v63, v62, v62
	v_fmac_f32_e32 v63, v61, v61
	s_delay_alu instid0(VALU_DEP_1) | instskip(SKIP_1) | instid1(VALU_DEP_1)
	v_cmp_gt_f32_e32 vcc_lo, 0xf800000, v63
	v_mul_f32_e32 v61, 0x4f800000, v63
	v_cndmask_b32_e32 v61, v63, v61, vcc_lo
	s_delay_alu instid0(VALU_DEP_1) | instskip(SKIP_2) | instid1(VALU_DEP_1)
	v_sqrt_f32_e32 v62, v61
	s_waitcnt_depctr 0xfff
	v_add_nc_u32_e32 v63, -1, v62
	v_fma_f32 v64, -v63, v62, v61
	s_delay_alu instid0(VALU_DEP_1) | instskip(SKIP_1) | instid1(VALU_DEP_2)
	v_cmp_ge_f32_e64 s6, 0, v64
	v_add_nc_u32_e32 v64, 1, v62
	v_cndmask_b32_e64 v63, v62, v63, s6
	s_delay_alu instid0(VALU_DEP_2) | instskip(NEXT) | instid1(VALU_DEP_1)
	v_fma_f32 v62, -v64, v62, v61
	v_cmp_lt_f32_e64 s6, 0, v62
	s_delay_alu instid0(VALU_DEP_1) | instskip(NEXT) | instid1(VALU_DEP_1)
	v_cndmask_b32_e64 v62, v63, v64, s6
	v_mul_f32_e32 v63, 0x37800000, v62
	s_delay_alu instid0(VALU_DEP_1) | instskip(SKIP_1) | instid1(VALU_DEP_2)
	v_cndmask_b32_e32 v62, v62, v63, vcc_lo
	v_cmp_class_f32_e64 vcc_lo, v61, 0x260
	v_cndmask_b32_e32 v61, v62, v61, vcc_lo
	s_delay_alu instid0(VALU_DEP_1) | instskip(SKIP_1) | instid1(VALU_DEP_2)
	v_sub_f32_e32 v60, v61, v60
	v_fma_f32 v57, -v57, v61, 1.0
	v_cmp_gt_f32_e32 vcc_lo, 0, v60
	v_fma_f32 v56, -v56, v60, 1.0
	v_cmp_lt_f32_e64 s6, v60, v147
	v_cndmask_b32_e64 v61, 0, 0x42980000, vcc_lo
	s_delay_alu instid0(VALU_DEP_3) | instskip(NEXT) | instid1(VALU_DEP_2)
	v_cndmask_b32_e64 v56, v56, 1.0, vcc_lo
	v_fmac_f32_e32 v135, v57, v61
	s_delay_alu instid0(VALU_DEP_4) | instskip(SKIP_1) | instid1(VALU_DEP_2)
	v_cndmask_b32_e64 v57, 0, 1.0, s6
	v_cmp_lt_f32_e64 s6, v60, v140
	v_mul_f32_e32 v56, v57, v56
	s_delay_alu instid0(VALU_DEP_2)
	s_and_b32 s5, s5, s6
	s_add_u32 s18, s18, 16
	v_cndmask_b32_e64 v57, 0, 1.0, s5
	s_addc_u32 s19, s19, 0
	v_mul_f32_e32 v56, v59, v56
	s_add_i32 s22, s22, -1
	s_delay_alu instid0(VALU_DEP_2) | instskip(SKIP_1) | instid1(VALU_DEP_2)
	v_mul_f32_e32 v55, v55, v57
	s_cmp_lg_u32 s22, 0
	v_cndmask_b32_e64 v56, v56, -|v56|, s23
	s_delay_alu instid0(VALU_DEP_1) | instskip(SKIP_1) | instid1(VALU_DEP_1)
	v_fmac_f32_e32 v135, 0x42340000, v56
	v_fma_f32 v56, -v58, v60, 1.0
	v_cndmask_b32_e64 v56, v56, 1.0, vcc_lo
	s_delay_alu instid0(VALU_DEP_1)
	v_fmac_f32_e32 v135, v56, v55
	s_cbranch_scc1 .LBB5_28
; %bb.29:                               ;   in Loop: Header=BB5_27 Depth=1
	s_add_i32 s16, s16, 1
	s_clause 0x3
	scratch_store_b128 off, v[128:131], off
	scratch_store_b128 off, v[124:127], off offset:16
	scratch_store_b128 off, v[120:123], off offset:32
	;; [unrolled: 1-line block ×3, first 2 shown]
	s_cmp_lg_u32 s16, s21
	s_clause 0x3
	scratch_store_b128 off, v[112:115], off offset:64
	scratch_store_b128 off, v[108:111], off offset:80
	;; [unrolled: 1-line block ×4, first 2 shown]
	s_cbranch_scc1 .LBB5_27
; %bb.30:
	s_and_saveexec_b32 s0, s2
	s_cbranch_execz .LBB5_32
; %bb.31:
	s_clause 0x3
	scratch_load_b128 v[0:3], off, off offset:84
	scratch_load_b128 v[4:7], off, off offset:100
	scratch_load_b96 v[8:10], off, off offset:116
	scratch_load_b64 v[11:12], off, off offset:2916
	v_mul_f32_e32 v19, 0.5, v128
	v_dual_mov_b32 v41, 0 :: v_dual_mul_f32 v20, 0.5, v129
	v_dual_mul_f32 v21, 0.5, v130 :: v_dual_mul_f32 v22, 0.5, v131
	v_dual_mul_f32 v23, 0.5, v124 :: v_dual_mul_f32 v24, 0.5, v125
	;; [unrolled: 1-line block ×9, first 2 shown]
	s_waitcnt vmcnt(3)
	v_dual_mul_f32 v37, 0.5, v114 :: v_dual_mul_f32 v0, 0.5, v0
	v_mul_f32_e32 v2, 0.5, v2
	s_waitcnt vmcnt(2)
	v_mul_f32_e32 v4, 0.5, v4
	s_waitcnt vmcnt(0)
	v_mov_b32_e32 v40, v11
	v_mul_f32_e32 v6, 0.5, v6
	v_mul_f32_e32 v8, 0.5, v8
	v_dual_mul_f32 v10, 0.5, v10 :: v_dual_mul_f32 v1, 0.5, v1
	s_delay_alu instid0(VALU_DEP_4) | instskip(SKIP_4) | instid1(VALU_DEP_4)
	v_lshlrev_b64 v[11:12], 2, v[40:41]
	v_dual_mul_f32 v3, 0.5, v3 :: v_dual_add_nc_u32 v40, s7, v40
	v_mul_f32_e32 v5, 0.5, v5
	v_mul_f32_e32 v7, 0.5, v7
	v_mul_f32_e32 v9, 0.5, v9
	v_lshlrev_b64 v[13:14], 2, v[40:41]
	v_add_nc_u32_e32 v40, s7, v40
	v_add_co_u32 v11, vcc_lo, s12, v11
	v_add_co_ci_u32_e32 v12, vcc_lo, s13, v12, vcc_lo
	s_delay_alu instid0(VALU_DEP_3) | instskip(SKIP_3) | instid1(VALU_DEP_3)
	v_lshlrev_b64 v[15:16], 2, v[40:41]
	v_add_nc_u32_e32 v40, s7, v40
	v_add_co_u32 v13, vcc_lo, s12, v13
	v_add_co_ci_u32_e32 v14, vcc_lo, s13, v14, vcc_lo
	v_lshlrev_b64 v[17:18], 2, v[40:41]
	v_add_nc_u32_e32 v40, s7, v40
	v_add_co_u32 v15, vcc_lo, s12, v15
	v_add_co_ci_u32_e32 v16, vcc_lo, s13, v16, vcc_lo
	s_clause 0x1
	global_store_b32 v[11:12], v19, off
	global_store_b32 v[13:14], v20, off
	v_lshlrev_b64 v[11:12], 2, v[40:41]
	v_add_nc_u32_e32 v40, s7, v40
	global_store_b32 v[15:16], v21, off
	v_add_co_u32 v13, vcc_lo, s12, v17
	v_add_co_ci_u32_e32 v14, vcc_lo, s13, v18, vcc_lo
	v_lshlrev_b64 v[15:16], 2, v[40:41]
	v_add_nc_u32_e32 v40, s7, v40
	v_add_co_u32 v11, vcc_lo, s12, v11
	v_add_co_ci_u32_e32 v12, vcc_lo, s13, v12, vcc_lo
	s_delay_alu instid0(VALU_DEP_3)
	v_lshlrev_b64 v[17:18], 2, v[40:41]
	v_add_nc_u32_e32 v40, s7, v40
	v_add_co_u32 v15, vcc_lo, s12, v15
	v_add_co_ci_u32_e32 v16, vcc_lo, s13, v16, vcc_lo
	s_clause 0x1
	global_store_b32 v[13:14], v22, off
	global_store_b32 v[11:12], v23, off
	v_lshlrev_b64 v[11:12], 2, v[40:41]
	v_add_nc_u32_e32 v40, s7, v40
	global_store_b32 v[15:16], v24, off
	v_add_co_u32 v13, vcc_lo, s12, v17
	v_add_co_ci_u32_e32 v14, vcc_lo, s13, v18, vcc_lo
	v_lshlrev_b64 v[15:16], 2, v[40:41]
	v_add_nc_u32_e32 v40, s7, v40
	v_add_co_u32 v11, vcc_lo, s12, v11
	v_add_co_ci_u32_e32 v12, vcc_lo, s13, v12, vcc_lo
	s_delay_alu instid0(VALU_DEP_3)
	;; [unrolled: 17-line block ×6, first 2 shown]
	v_lshlrev_b64 v[17:18], 2, v[40:41]
	v_add_nc_u32_e32 v40, s7, v40
	v_add_co_u32 v15, vcc_lo, s12, v15
	v_add_co_ci_u32_e32 v16, vcc_lo, s13, v16, vcc_lo
	s_clause 0x1
	global_store_b32 v[13:14], v37, off
	global_store_b32 v[11:12], v38, off
	v_lshlrev_b64 v[11:12], 2, v[40:41]
	v_add_nc_u32_e32 v40, s7, v40
	global_store_b32 v[15:16], v39, off
	v_add_co_u32 v13, vcc_lo, s12, v17
	v_add_co_ci_u32_e32 v14, vcc_lo, s13, v18, vcc_lo
	v_lshlrev_b64 v[15:16], 2, v[40:41]
	v_add_nc_u32_e32 v40, s7, v40
	v_add_co_u32 v11, vcc_lo, s12, v11
	v_add_co_ci_u32_e32 v12, vcc_lo, s13, v12, vcc_lo
	s_delay_alu instid0(VALU_DEP_3) | instskip(SKIP_3) | instid1(VALU_DEP_3)
	v_lshlrev_b64 v[17:18], 2, v[40:41]
	v_add_nc_u32_e32 v40, s7, v40
	v_add_co_u32 v15, vcc_lo, s12, v15
	v_add_co_ci_u32_e32 v16, vcc_lo, s13, v16, vcc_lo
	v_lshlrev_b64 v[19:20], 2, v[40:41]
	v_add_nc_u32_e32 v40, s7, v40
	v_add_co_u32 v17, vcc_lo, s12, v17
	v_add_co_ci_u32_e32 v18, vcc_lo, s13, v18, vcc_lo
	s_delay_alu instid0(VALU_DEP_3) | instskip(SKIP_3) | instid1(VALU_DEP_3)
	v_lshlrev_b64 v[21:22], 2, v[40:41]
	v_add_nc_u32_e32 v40, s7, v40
	;; [unrolled: 9-line block ×4, first 2 shown]
	v_add_co_u32 v27, vcc_lo, s12, v27
	v_add_co_ci_u32_e32 v28, vcc_lo, s13, v28, vcc_lo
	v_lshlrev_b64 v[31:32], 2, v[40:41]
	v_add_co_u32 v29, vcc_lo, s12, v29
	v_add_co_ci_u32_e32 v30, vcc_lo, s13, v30, vcc_lo
	s_delay_alu instid0(VALU_DEP_3) | instskip(NEXT) | instid1(VALU_DEP_4)
	v_add_co_u32 v31, vcc_lo, s12, v31
	v_add_co_ci_u32_e32 v32, vcc_lo, s13, v32, vcc_lo
	s_clause 0xa
	global_store_b32 v[13:14], v0, off
	global_store_b32 v[11:12], v1, off
	;; [unrolled: 1-line block ×11, first 2 shown]
.LBB5_32:
	s_endpgm
	.section	.rodata,"a",@progbits
	.p2align	6, 0x0
	.amdhsa_kernel _ZL11fasten_mainILm32EEviiPK4AtomS2_PKfS4_S4_S4_S4_S4_PfPK8FFParamsi
		.amdhsa_group_segment_fixed_size 0
		.amdhsa_private_segment_fixed_size 2928
		.amdhsa_kernarg_size 352
		.amdhsa_user_sgpr_count 15
		.amdhsa_user_sgpr_dispatch_ptr 0
		.amdhsa_user_sgpr_queue_ptr 0
		.amdhsa_user_sgpr_kernarg_segment_ptr 1
		.amdhsa_user_sgpr_dispatch_id 0
		.amdhsa_user_sgpr_private_segment_size 0
		.amdhsa_wavefront_size32 1
		.amdhsa_uses_dynamic_stack 0
		.amdhsa_enable_private_segment 1
		.amdhsa_system_sgpr_workgroup_id_x 1
		.amdhsa_system_sgpr_workgroup_id_y 0
		.amdhsa_system_sgpr_workgroup_id_z 0
		.amdhsa_system_sgpr_workgroup_info 0
		.amdhsa_system_vgpr_workitem_id 0
		.amdhsa_next_free_vgpr 192
		.amdhsa_next_free_sgpr 30
		.amdhsa_reserve_vcc 1
		.amdhsa_float_round_mode_32 0
		.amdhsa_float_round_mode_16_64 0
		.amdhsa_float_denorm_mode_32 3
		.amdhsa_float_denorm_mode_16_64 3
		.amdhsa_dx10_clamp 1
		.amdhsa_ieee_mode 1
		.amdhsa_fp16_overflow 0
		.amdhsa_workgroup_processor_mode 1
		.amdhsa_memory_ordered 1
		.amdhsa_forward_progress 0
		.amdhsa_shared_vgpr_count 0
		.amdhsa_exception_fp_ieee_invalid_op 0
		.amdhsa_exception_fp_denorm_src 0
		.amdhsa_exception_fp_ieee_div_zero 0
		.amdhsa_exception_fp_ieee_overflow 0
		.amdhsa_exception_fp_ieee_underflow 0
		.amdhsa_exception_fp_ieee_inexact 0
		.amdhsa_exception_int_div_zero 0
	.end_amdhsa_kernel
	.section	.text._ZL11fasten_mainILm32EEviiPK4AtomS2_PKfS4_S4_S4_S4_S4_PfPK8FFParamsi,"axG",@progbits,_ZL11fasten_mainILm32EEviiPK4AtomS2_PKfS4_S4_S4_S4_S4_PfPK8FFParamsi,comdat
.Lfunc_end5:
	.size	_ZL11fasten_mainILm32EEviiPK4AtomS2_PKfS4_S4_S4_S4_S4_PfPK8FFParamsi, .Lfunc_end5-_ZL11fasten_mainILm32EEviiPK4AtomS2_PKfS4_S4_S4_S4_S4_PfPK8FFParamsi
                                        ; -- End function
	.section	.AMDGPU.csdata,"",@progbits
; Kernel info:
; codeLenInByte = 23056
; NumSgprs: 32
; NumVgprs: 192
; ScratchSize: 2928
; MemoryBound: 0
; FloatMode: 240
; IeeeMode: 1
; LDSByteSize: 0 bytes/workgroup (compile time only)
; SGPRBlocks: 3
; VGPRBlocks: 23
; NumSGPRsForWavesPerEU: 32
; NumVGPRsForWavesPerEU: 192
; Occupancy: 8
; WaveLimiterHint : 1
; COMPUTE_PGM_RSRC2:SCRATCH_EN: 1
; COMPUTE_PGM_RSRC2:USER_SGPR: 15
; COMPUTE_PGM_RSRC2:TRAP_HANDLER: 0
; COMPUTE_PGM_RSRC2:TGID_X_EN: 1
; COMPUTE_PGM_RSRC2:TGID_Y_EN: 0
; COMPUTE_PGM_RSRC2:TGID_Z_EN: 0
; COMPUTE_PGM_RSRC2:TIDIG_COMP_CNT: 0
	.section	.text._ZL11fasten_mainILm64EEviiPK4AtomS2_PKfS4_S4_S4_S4_S4_PfPK8FFParamsi,"axG",@progbits,_ZL11fasten_mainILm64EEviiPK4AtomS2_PKfS4_S4_S4_S4_S4_PfPK8FFParamsi,comdat
	.globl	_ZL11fasten_mainILm64EEviiPK4AtomS2_PKfS4_S4_S4_S4_S4_PfPK8FFParamsi ; -- Begin function _ZL11fasten_mainILm64EEviiPK4AtomS2_PKfS4_S4_S4_S4_S4_PfPK8FFParamsi
	.p2align	8
	.type	_ZL11fasten_mainILm64EEviiPK4AtomS2_PKfS4_S4_S4_S4_S4_PfPK8FFParamsi,@function
_ZL11fasten_mainILm64EEviiPK4AtomS2_PKfS4_S4_S4_S4_S4_PfPK8FFParamsi: ; @_ZL11fasten_mainILm64EEviiPK4AtomS2_PKfS4_S4_S4_S4_S4_PfPK8FFParamsi
; %bb.0:
	s_clause 0x1
	s_load_b32 s2, s[0:1], 0x6c
	s_load_b32 s3, s[0:1], 0x58
	v_mov_b32_e32 v4, 16
	s_mov_b32 s6, 0
	s_mov_b32 s25, 0x7fffff
	s_mov_b32 s26, 0xb94c1982
	s_mov_b32 s27, 0x37d75334
	v_mov_b32_e32 v3, 0
	s_waitcnt lgkmcnt(0)
	s_and_b32 s7, s2, 0xffff
	s_sub_i32 s4, s3, 64
	s_mul_i32 s15, s15, s7
	s_lshl_b32 s24, s7, 2
	v_lshl_add_u32 v1, s15, 6, v0
	s_load_b512 s[8:23], s[0:1], 0x8
	s_delay_alu instid0(VALU_DEP_1) | instskip(SKIP_4) | instid1(VALU_DEP_1)
	v_cmp_gt_i32_e64 s2, s3, v1
	v_mov_b32_e32 v0, v1
	s_movk_i32 s3, 0x1314
	scratch_store_b64 off, v[0:1], s3       ; 8-byte Folded Spill
	v_cndmask_b32_e64 v0, s4, v1, s2
	v_ashrrev_i32_e32 v1, 31, v0
	s_delay_alu instid0(VALU_DEP_1)
	v_lshlrev_b64 v[0:1], 2, v[0:1]
	s_branch .LBB6_2
.LBB6_1:                                ;   in Loop: Header=BB6_2 Depth=1
	s_or_b32 exec_lo, exec_lo, s3
	v_add_co_u32 v21, vcc_lo, s18, v0
	v_add_co_ci_u32_e32 v22, vcc_lo, s19, v1, vcc_lo
	v_add_co_u32 v24, vcc_lo, s20, v0
	v_add_co_ci_u32_e32 v25, vcc_lo, s21, v1, vcc_lo
	v_add_co_u32 v26, vcc_lo, s22, v0
	v_add_co_ci_u32_e32 v27, vcc_lo, s23, v1, vcc_lo
	global_load_b32 v21, v[21:22], off
	global_load_b32 v25, v[24:25], off
	;; [unrolled: 1-line block ×3, first 2 shown]
	v_dual_mul_f32 v31, v9, v9 :: v_dual_and_b32 v24, 1, v20
	v_dual_mul_f32 v33, v7, v7 :: v_dual_lshlrev_b32 v20, 30, v20
	v_dual_mul_f32 v22, v19, v19 :: v_dual_and_b32 v27, 1, v17
	v_mul_f32_e32 v28, v13, v13
	v_and_b32_e32 v34, 1, v8
	s_delay_alu instid0(VALU_DEP_4) | instskip(NEXT) | instid1(VALU_DEP_4)
	v_fmaak_f32 v46, s26, v33, 0x3c0881c4
	v_dual_fmaak_f32 v39, s27, v22, 0xbab64f3b :: v_dual_and_b32 v32, 1, v11
	v_mul_f32_e32 v35, v2, v2
	s_delay_alu instid0(VALU_DEP_3) | instskip(NEXT) | instid1(VALU_DEP_3)
	v_dual_fmaak_f32 v46, v33, v46, 0xbe2aaa9d :: v_dual_lshlrev_b32 v11, 30, v11
	v_dual_fmaak_f32 v39, v22, v39, 0x3d2aabf7 :: v_dual_and_b32 v30, 1, v14
	v_dual_fmaak_f32 v43, s27, v28, 0xbab64f3b :: v_dual_and_b32 v36, 1, v23
	s_delay_alu instid0(VALU_DEP_3) | instskip(SKIP_1) | instid1(VALU_DEP_3)
	v_dual_fmaak_f32 v47, s27, v33, 0xbab64f3b :: v_dual_mul_f32 v46, v33, v46
	v_fmaak_f32 v42, s26, v28, 0x3c0881c4
	v_fmaak_f32 v43, v28, v43, 0x3d2aabf7
	v_dual_mul_f32 v26, v15, v15 :: v_dual_lshlrev_b32 v17, 30, v17
	s_delay_alu instid0(VALU_DEP_4) | instskip(NEXT) | instid1(VALU_DEP_4)
	v_fmac_f32_e32 v7, v7, v46
	v_fmaak_f32 v42, v28, v42, 0xbe2aaa9d
	v_fmaak_f32 v49, s27, v35, 0xbab64f3b
	v_dual_fmaak_f32 v38, s26, v22, 0x3c0881c4 :: v_dual_lshlrev_b32 v23, 30, v23
	v_add_nc_u32_e64 v37, 0x110, s6
	s_delay_alu instid0(VALU_DEP_4) | instskip(SKIP_4) | instid1(VALU_DEP_4)
	v_mul_f32_e32 v42, v28, v42
	v_fmaak_f32 v44, s26, v31, 0x3c0881c4
	v_fmaak_f32 v47, v33, v47, 0x3d2aabf7
	v_dual_fmaak_f32 v43, v28, v43, 0xbf000004 :: v_dual_lshlrev_b32 v8, 30, v8
	v_fmaak_f32 v41, s27, v26, 0xbab64f3b
	v_dual_fmac_f32 v13, v13, v42 :: v_dual_fmaak_f32 v44, v31, v44, 0xbe2aaa9d
	v_and_b32_e32 v23, 0x80000000, v23
	v_fmaak_f32 v47, v33, v47, 0xbf000004
	v_fma_f32 v28, v28, v43, 1.0
	v_fmaak_f32 v38, v22, v38, 0xbe2aaa9d
	v_mul_f32_e32 v44, v31, v44
	v_fmaak_f32 v40, s26, v26, 0x3c0881c4
	scratch_store_b32 v4, v3, off
	v_dual_mul_f32 v38, v22, v38 :: v_dual_and_b32 v17, 0x80000000, v17
	v_fmaak_f32 v41, v26, v41, 0x3d2aabf7
	v_fmaak_f32 v39, v22, v39, 0xbf000004
	v_fmac_f32_e32 v9, v9, v44
	v_add_nc_u32_e32 v4, 4, v4
	v_fma_f32 v33, v33, v47, 1.0
	v_fmaak_f32 v40, v26, v40, 0xbe2aaa9d
	v_dual_fmaak_f32 v45, s27, v31, 0xbab64f3b :: v_dual_lshlrev_b32 v14, 30, v14
	v_dual_fmac_f32 v19, v19, v38 :: v_dual_and_b32 v20, 0x80000000, v20
	s_delay_alu instid0(VALU_DEP_3) | instskip(SKIP_3) | instid1(VALU_DEP_4)
	v_dual_mul_f32 v40, v26, v40 :: v_dual_and_b32 v11, 0x80000000, v11
	v_fmaak_f32 v41, v26, v41, 0xbf000004
	v_fma_f32 v22, v22, v39, 1.0
	v_cmp_eq_u32_e32 vcc_lo, 0, v24
	v_dual_fmac_f32 v15, v15, v40 :: v_dual_and_b32 v14, 0x80000000, v14
	v_and_b32_e32 v8, 0x80000000, v8
	v_fmaak_f32 v45, v31, v45, 0x3d2aabf7
	v_fma_f32 v26, v26, v41, 1.0
	v_cndmask_b32_e32 v19, v22, v19, vcc_lo
	v_cmp_eq_u32_e32 vcc_lo, 0, v27
	v_xor_b32_e32 v18, v18, v16
	v_fmaak_f32 v45, v31, v45, 0xbf000004
	v_xor_b32_e32 v6, v6, v5
	v_fmaak_f32 v48, s26, v35, 0x3c0881c4
	v_cndmask_b32_e64 v15, -v15, v26, vcc_lo
	v_cmp_eq_u32_e32 vcc_lo, 0, v30
	v_fma_f32 v31, v31, v45, 1.0
	v_xor3_b32 v18, v18, v20, v19
	v_cmp_class_f32_e64 s3, v5, 0x1f8
	v_cmp_class_f32_e64 s4, v16, 0x1f8
	v_cndmask_b32_e32 v13, v28, v13, vcc_lo
	v_cmp_eq_u32_e32 vcc_lo, 0, v32
	v_xor_b32_e32 v12, v12, v10
	v_xor_b32_e32 v15, v17, v15
	s_add_i32 s5, s6, 0x110
	s_add_i32 s6, s6, 48
	v_cndmask_b32_e64 v9, -v9, v31, vcc_lo
	v_cmp_eq_u32_e32 vcc_lo, 0, v34
	s_cmpk_lg_i32 s6, 0xc00
	s_delay_alu instid0(VALU_DEP_2) | instskip(SKIP_3) | instid1(VALU_DEP_4)
	v_xor_b32_e32 v9, v11, v9
	v_add_nc_u32_e32 v11, 32, v37
	v_cndmask_b32_e32 v7, v33, v7, vcc_lo
	v_cmp_eq_u32_e32 vcc_lo, 0, v36
	v_cndmask_b32_e64 v9, 0x7fc00000, v9, s3
	s_delay_alu instid0(VALU_DEP_3) | instskip(SKIP_2) | instid1(VALU_DEP_3)
	v_xor3_b32 v5, v6, v8, v7
	v_cndmask_b32_e64 v6, 0x7fc00000, v18, s4
	v_fmaak_f32 v49, v35, v49, 0x3d2aabf7
	v_cndmask_b32_e64 v5, 0x7fc00000, v5, s3
	v_fmaak_f32 v48, v35, v48, 0xbe2aaa9d
	s_delay_alu instid0(VALU_DEP_3) | instskip(NEXT) | instid1(VALU_DEP_2)
	v_fmaak_f32 v49, v35, v49, 0xbf000004
	v_mul_f32_e32 v48, v35, v48
	s_delay_alu instid0(VALU_DEP_2) | instskip(NEXT) | instid1(VALU_DEP_2)
	v_fma_f32 v35, v35, v49, 1.0
	v_fmac_f32_e32 v2, v2, v48
	s_delay_alu instid0(VALU_DEP_1) | instskip(SKIP_3) | instid1(VALU_DEP_4)
	v_cndmask_b32_e64 v2, -v2, v35, vcc_lo
	v_cmp_class_f32_e64 vcc_lo, v10, 0x1f8
	v_xor3_b32 v10, v12, v14, v13
	v_mul_f32_e32 v14, v9, v6
	v_xor_b32_e32 v2, v23, v2
	v_cndmask_b32_e32 v7, 0x7fc00000, v15, vcc_lo
	s_delay_alu instid0(VALU_DEP_4) | instskip(SKIP_1) | instid1(VALU_DEP_4)
	v_cndmask_b32_e32 v8, 0x7fc00000, v10, vcc_lo
	v_add_co_u32 v0, vcc_lo, v0, s24
	v_cndmask_b32_e64 v2, 0x7fc00000, v2, s4
	s_delay_alu instid0(VALU_DEP_4) | instskip(NEXT) | instid1(VALU_DEP_4)
	v_mul_f32_e32 v28, v9, v7
	v_mul_f32_e32 v13, v9, v8
	;; [unrolled: 1-line block ×3, first 2 shown]
	v_add_co_ci_u32_e32 v1, vcc_lo, 0, v1, vcc_lo
	v_mul_f32_e32 v23, v9, v2
	s_delay_alu instid0(VALU_DEP_4)
	v_mul_f32_e32 v20, v13, v2
	v_mul_f32_e32 v15, v5, v2
	;; [unrolled: 1-line block ×3, first 2 shown]
	v_fma_f32 v19, v12, v2, -v14
	v_add_nc_u32_e32 v10, 16, v37
	v_fmac_f32_e32 v20, v5, v6
	v_mul_f32_e32 v22, v7, v6
	v_fmac_f32_e32 v23, v12, v6
	v_fma_f32 v24, v13, v6, -v15
	v_xor_b32_e32 v26, 0x80000000, v8
	v_mul_f32_e32 v27, v5, v7
	s_waitcnt vmcnt(2)
	scratch_store_b128 off, v[18:21], s5
	s_waitcnt vmcnt(1)
	scratch_store_b128 v10, v[22:25], off
	s_waitcnt vmcnt(0)
	scratch_store_b128 v11, v[26:29], off
	s_cbranch_scc0 .LBB6_26
.LBB6_2:                                ; =>This Inner Loop Header: Depth=1
	s_waitcnt lgkmcnt(0)
	s_delay_alu instid0(VALU_DEP_1) | instskip(NEXT) | instid1(VALU_DEP_2)
	v_add_co_u32 v5, vcc_lo, s12, v0
	v_add_co_ci_u32_e32 v6, vcc_lo, s13, v1, vcc_lo
                                        ; implicit-def: $vgpr8
                                        ; implicit-def: $vgpr7
	global_load_b32 v5, v[5:6], off
	s_waitcnt vmcnt(0)
	v_and_b32_e32 v6, 0x7fffffff, v5
	v_cmp_ngt_f32_e64 s28, 0x48000000, |v5|
	s_delay_alu instid0(VALU_DEP_2) | instskip(SKIP_1) | instid1(VALU_DEP_2)
	v_lshrrev_b32_e32 v2, 23, v6
	v_and_or_b32 v10, v6, s25, 0x800000
	v_add_nc_u32_e32 v12, 0xffffff88, v2
	s_delay_alu instid0(VALU_DEP_4) | instskip(NEXT) | instid1(SALU_CYCLE_1)
	s_and_saveexec_b32 s3, s28
	s_xor_b32 s29, exec_lo, s3
	s_cbranch_execz .LBB6_4
; %bb.3:                                ;   in Loop: Header=BB6_2 Depth=1
	v_mad_u64_u32 v[7:8], null, 0xfe5163ab, v10, 0
	v_cmp_lt_u32_e32 vcc_lo, 63, v12
	s_delay_alu instid0(VALU_DEP_2) | instskip(NEXT) | instid1(VALU_DEP_1)
	v_mov_b32_e32 v2, v8
	v_mad_u64_u32 v[8:9], null, 0x3c439041, v10, v[2:3]
	s_delay_alu instid0(VALU_DEP_1) | instskip(SKIP_1) | instid1(VALU_DEP_1)
	v_mov_b32_e32 v2, v9
	v_cndmask_b32_e64 v9, 0, 0xffffffc0, vcc_lo
	v_add_nc_u32_e32 v9, v9, v12
	s_delay_alu instid0(VALU_DEP_1) | instskip(NEXT) | instid1(VALU_DEP_1)
	v_cmp_lt_u32_e64 s3, 31, v9
	v_cndmask_b32_e64 v11, 0, 0xffffffe0, s3
	s_delay_alu instid0(VALU_DEP_1) | instskip(SKIP_1) | instid1(VALU_DEP_2)
	v_add_nc_u32_e32 v9, v11, v9
	v_mad_u64_u32 v[13:14], null, 0xdb629599, v10, v[2:3]
	v_cmp_lt_u32_e64 s4, 31, v9
	s_delay_alu instid0(VALU_DEP_2) | instskip(NEXT) | instid1(VALU_DEP_1)
	v_dual_mov_b32 v2, v14 :: v_dual_cndmask_b32 v7, v13, v7
	v_mad_u64_u32 v[14:15], null, 0xf534ddc0, v10, v[2:3]
	s_delay_alu instid0(VALU_DEP_1) | instskip(NEXT) | instid1(VALU_DEP_2)
	v_mov_b32_e32 v2, v15
	v_cndmask_b32_e32 v8, v14, v8, vcc_lo
	s_delay_alu instid0(VALU_DEP_2) | instskip(NEXT) | instid1(VALU_DEP_2)
	v_mad_u64_u32 v[15:16], null, 0xfc2757d1, v10, v[2:3]
	v_cndmask_b32_e64 v7, v8, v7, s3
	s_delay_alu instid0(VALU_DEP_2) | instskip(NEXT) | instid1(VALU_DEP_1)
	v_mov_b32_e32 v2, v16
	v_mad_u64_u32 v[16:17], null, 0x4e441529, v10, v[2:3]
	s_delay_alu instid0(VALU_DEP_1) | instskip(NEXT) | instid1(VALU_DEP_1)
	v_dual_mov_b32 v2, v17 :: v_dual_cndmask_b32 v11, v16, v14
	v_mad_u64_u32 v[17:18], null, 0xa2f9836e, v10, v[2:3]
	v_cndmask_b32_e64 v2, 0, 0xffffffe0, s4
	s_delay_alu instid0(VALU_DEP_1) | instskip(NEXT) | instid1(VALU_DEP_3)
	v_dual_cndmask_b32 v17, v17, v15 :: v_dual_add_nc_u32 v2, v2, v9
	v_dual_cndmask_b32 v16, v18, v16 :: v_dual_cndmask_b32 v15, v15, v13
	s_delay_alu instid0(VALU_DEP_2) | instskip(NEXT) | instid1(VALU_DEP_3)
	v_cmp_eq_u32_e64 s5, 0, v2
	v_cndmask_b32_e64 v9, v17, v11, s3
	s_delay_alu instid0(VALU_DEP_3) | instskip(NEXT) | instid1(VALU_DEP_4)
	v_cndmask_b32_e64 v14, v16, v17, s3
	v_cndmask_b32_e64 v11, v11, v15, s3
	v_sub_nc_u32_e32 v16, 32, v2
	v_cndmask_b32_e64 v15, v15, v8, s3
	s_delay_alu instid0(VALU_DEP_4) | instskip(NEXT) | instid1(VALU_DEP_4)
	v_cndmask_b32_e64 v14, v14, v9, s4
	v_cndmask_b32_e64 v9, v9, v11, s4
	s_delay_alu instid0(VALU_DEP_3) | instskip(SKIP_1) | instid1(VALU_DEP_3)
	v_cndmask_b32_e64 v11, v11, v15, s4
	v_cndmask_b32_e64 v7, v15, v7, s4
	v_alignbit_b32 v17, v14, v9, v16
	s_delay_alu instid0(VALU_DEP_3) | instskip(NEXT) | instid1(VALU_DEP_3)
	v_alignbit_b32 v18, v9, v11, v16
	v_alignbit_b32 v16, v11, v7, v16
	s_delay_alu instid0(VALU_DEP_3) | instskip(NEXT) | instid1(VALU_DEP_3)
	v_cndmask_b32_e64 v2, v17, v14, s5
	v_cndmask_b32_e64 v9, v18, v9, s5
	s_delay_alu instid0(VALU_DEP_3) | instskip(NEXT) | instid1(VALU_DEP_3)
	v_cndmask_b32_e64 v11, v16, v11, s5
	v_bfe_u32 v13, v2, 29, 1
	s_delay_alu instid0(VALU_DEP_3) | instskip(NEXT) | instid1(VALU_DEP_3)
	v_alignbit_b32 v8, v2, v9, 30
	v_alignbit_b32 v9, v9, v11, 30
	;; [unrolled: 1-line block ×3, first 2 shown]
	s_delay_alu instid0(VALU_DEP_4) | instskip(NEXT) | instid1(VALU_DEP_1)
	v_sub_nc_u32_e32 v14, 0, v13
	v_xor_b32_e32 v15, v8, v14
	v_cmp_ne_u32_e32 vcc_lo, v8, v14
	v_xor_b32_e32 v9, v9, v14
	v_xor_b32_e32 v7, v7, v14
	s_delay_alu instid0(VALU_DEP_4) | instskip(NEXT) | instid1(VALU_DEP_1)
	v_clz_i32_u32_e32 v17, v15
	v_add_nc_u32_e32 v16, 1, v17
	s_delay_alu instid0(VALU_DEP_1) | instskip(NEXT) | instid1(VALU_DEP_1)
	v_cndmask_b32_e32 v8, 33, v16, vcc_lo
	v_sub_nc_u32_e32 v11, 32, v8
	s_delay_alu instid0(VALU_DEP_1) | instskip(SKIP_3) | instid1(VALU_DEP_3)
	v_alignbit_b32 v14, v15, v9, v11
	v_alignbit_b32 v7, v9, v7, v11
	v_lshrrev_b32_e32 v9, 29, v2
	v_lshrrev_b32_e32 v2, 30, v2
	v_alignbit_b32 v11, v14, v7, 9
	s_delay_alu instid0(VALU_DEP_3) | instskip(SKIP_1) | instid1(VALU_DEP_3)
	v_lshlrev_b32_e32 v9, 31, v9
	v_alignbit_b32 v14, v8, v14, 9
	v_clz_i32_u32_e32 v15, v11
	s_delay_alu instid0(VALU_DEP_2) | instskip(SKIP_1) | instid1(VALU_DEP_3)
	v_or_b32_e32 v14, v14, v9
	v_or_b32_e32 v9, 0x33800000, v9
	v_min_u32_e32 v15, 32, v15
	s_delay_alu instid0(VALU_DEP_3) | instskip(NEXT) | instid1(VALU_DEP_2)
	v_xor_b32_e32 v14, 1.0, v14
	v_sub_nc_u32_e32 v16, 31, v15
	v_add_lshl_u32 v8, v15, v8, 23
	s_delay_alu instid0(VALU_DEP_3) | instskip(NEXT) | instid1(VALU_DEP_3)
	v_mul_f32_e32 v15, 0x3fc90fda, v14
	v_alignbit_b32 v7, v11, v7, v16
	s_delay_alu instid0(VALU_DEP_3) | instskip(NEXT) | instid1(VALU_DEP_3)
	v_sub_nc_u32_e32 v8, v9, v8
	v_fma_f32 v9, 0x3fc90fda, v14, -v15
	s_delay_alu instid0(VALU_DEP_3) | instskip(NEXT) | instid1(VALU_DEP_2)
	v_lshrrev_b32_e32 v7, 9, v7
	v_fmac_f32_e32 v9, 0x33a22168, v14
	s_delay_alu instid0(VALU_DEP_2) | instskip(NEXT) | instid1(VALU_DEP_1)
	v_or_b32_e32 v7, v8, v7
	v_dual_fmac_f32 v9, 0x3fc90fda, v7 :: v_dual_add_nc_u32 v8, v13, v2
	s_delay_alu instid0(VALU_DEP_1)
	v_add_f32_e32 v7, v15, v9
.LBB6_4:                                ;   in Loop: Header=BB6_2 Depth=1
	s_or_saveexec_b32 s3, s29
	v_mul_f32_e64 v2, 0x3f22f983, |v5|
	s_delay_alu instid0(VALU_DEP_1)
	v_rndne_f32_e32 v2, v2
	s_xor_b32 exec_lo, exec_lo, s3
; %bb.5:                                ;   in Loop: Header=BB6_2 Depth=1
	s_delay_alu instid0(VALU_DEP_1) | instskip(SKIP_1) | instid1(VALU_DEP_2)
	v_fma_f32 v7, 0xbfc90fda, v2, |v5|
	v_cvt_i32_f32_e32 v8, v2
	v_fmac_f32_e32 v7, 0xb3a22168, v2
	s_delay_alu instid0(VALU_DEP_1)
	v_fmac_f32_e32 v7, 0xa7c234c4, v2
; %bb.6:                                ;   in Loop: Header=BB6_2 Depth=1
	s_or_b32 exec_lo, exec_lo, s3
                                        ; implicit-def: $vgpr11
                                        ; implicit-def: $vgpr9
	s_and_saveexec_b32 s3, s28
	s_delay_alu instid0(SALU_CYCLE_1)
	s_xor_b32 s28, exec_lo, s3
	s_cbranch_execz .LBB6_8
; %bb.7:                                ;   in Loop: Header=BB6_2 Depth=1
	v_mad_u64_u32 v[13:14], null, 0xfe5163ab, v10, 0
	v_cmp_lt_u32_e32 vcc_lo, 63, v12
	v_cndmask_b32_e64 v9, 0, 0xffffffc0, vcc_lo
	s_delay_alu instid0(VALU_DEP_1) | instskip(NEXT) | instid1(VALU_DEP_1)
	v_dual_mov_b32 v2, v14 :: v_dual_add_nc_u32 v9, v9, v12
	v_mad_u64_u32 v[14:15], null, 0x3c439041, v10, v[2:3]
	s_delay_alu instid0(VALU_DEP_2) | instskip(NEXT) | instid1(VALU_DEP_2)
	v_cmp_lt_u32_e64 s3, 31, v9
	v_mov_b32_e32 v2, v15
	s_delay_alu instid0(VALU_DEP_1) | instskip(NEXT) | instid1(VALU_DEP_1)
	v_mad_u64_u32 v[15:16], null, 0xdb629599, v10, v[2:3]
	v_mov_b32_e32 v2, v16
	s_delay_alu instid0(VALU_DEP_1) | instskip(NEXT) | instid1(VALU_DEP_1)
	v_mad_u64_u32 v[16:17], null, 0xf534ddc0, v10, v[2:3]
	;; [unrolled: 3-line block ×3, first 2 shown]
	v_mov_b32_e32 v2, v18
	v_cndmask_b32_e64 v18, 0, 0xffffffe0, s3
	s_delay_alu instid0(VALU_DEP_2) | instskip(NEXT) | instid1(VALU_DEP_2)
	v_mad_u64_u32 v[11:12], null, 0x4e441529, v10, v[2:3]
	v_add_nc_u32_e32 v9, v18, v9
	s_delay_alu instid0(VALU_DEP_1) | instskip(NEXT) | instid1(VALU_DEP_3)
	v_cmp_lt_u32_e64 s4, 31, v9
	v_mov_b32_e32 v2, v12
	s_delay_alu instid0(VALU_DEP_1) | instskip(NEXT) | instid1(VALU_DEP_3)
	v_mad_u64_u32 v[18:19], null, 0xa2f9836e, v10, v[2:3]
	v_cndmask_b32_e64 v2, 0, 0xffffffe0, s4
	v_cndmask_b32_e32 v10, v11, v16, vcc_lo
	s_delay_alu instid0(VALU_DEP_2) | instskip(NEXT) | instid1(VALU_DEP_4)
	v_add_nc_u32_e32 v2, v2, v9
	v_dual_cndmask_b32 v12, v18, v17 :: v_dual_cndmask_b32 v11, v19, v11
	v_cndmask_b32_e32 v17, v17, v15, vcc_lo
	v_cndmask_b32_e32 v9, v16, v14, vcc_lo
	s_delay_alu instid0(VALU_DEP_4) | instskip(NEXT) | instid1(VALU_DEP_4)
	v_cmp_eq_u32_e64 s5, 0, v2
	v_cndmask_b32_e64 v14, v12, v10, s3
	v_cndmask_b32_e64 v11, v11, v12, s3
	;; [unrolled: 1-line block ×3, first 2 shown]
	v_sub_nc_u32_e32 v12, 32, v2
	v_cndmask_b32_e64 v16, v17, v9, s3
	s_delay_alu instid0(VALU_DEP_4) | instskip(NEXT) | instid1(VALU_DEP_4)
	v_cndmask_b32_e64 v11, v11, v14, s4
	v_cndmask_b32_e64 v14, v14, v10, s4
	s_delay_alu instid0(VALU_DEP_3) | instskip(NEXT) | instid1(VALU_DEP_2)
	v_cndmask_b32_e64 v10, v10, v16, s4
	v_alignbit_b32 v17, v11, v14, v12
	s_delay_alu instid0(VALU_DEP_2) | instskip(NEXT) | instid1(VALU_DEP_2)
	v_alignbit_b32 v18, v14, v10, v12
	v_cndmask_b32_e64 v2, v17, v11, s5
	v_cndmask_b32_e32 v11, v15, v13, vcc_lo
	s_delay_alu instid0(VALU_DEP_3) | instskip(NEXT) | instid1(VALU_DEP_3)
	v_cndmask_b32_e64 v13, v18, v14, s5
	v_bfe_u32 v14, v2, 29, 1
	s_delay_alu instid0(VALU_DEP_3) | instskip(NEXT) | instid1(VALU_DEP_3)
	v_cndmask_b32_e64 v9, v9, v11, s3
	v_alignbit_b32 v11, v2, v13, 30
	s_delay_alu instid0(VALU_DEP_3) | instskip(NEXT) | instid1(VALU_DEP_3)
	v_sub_nc_u32_e32 v15, 0, v14
	v_cndmask_b32_e64 v9, v16, v9, s4
	s_delay_alu instid0(VALU_DEP_2) | instskip(NEXT) | instid1(VALU_DEP_2)
	v_xor_b32_e32 v16, v11, v15
	v_alignbit_b32 v12, v10, v9, v12
	v_cmp_ne_u32_e32 vcc_lo, v11, v15
	s_delay_alu instid0(VALU_DEP_3) | instskip(NEXT) | instid1(VALU_DEP_3)
	v_clz_i32_u32_e32 v17, v16
	v_cndmask_b32_e64 v10, v12, v10, s5
	s_delay_alu instid0(VALU_DEP_2) | instskip(NEXT) | instid1(VALU_DEP_2)
	v_add_nc_u32_e32 v12, 1, v17
	v_alignbit_b32 v13, v13, v10, 30
	v_alignbit_b32 v9, v10, v9, 30
	s_delay_alu instid0(VALU_DEP_3) | instskip(NEXT) | instid1(VALU_DEP_3)
	v_cndmask_b32_e32 v11, 33, v12, vcc_lo
	v_xor_b32_e32 v10, v13, v15
	s_delay_alu instid0(VALU_DEP_3) | instskip(NEXT) | instid1(VALU_DEP_3)
	v_xor_b32_e32 v9, v9, v15
	v_sub_nc_u32_e32 v12, 32, v11
	s_delay_alu instid0(VALU_DEP_1) | instskip(NEXT) | instid1(VALU_DEP_3)
	v_alignbit_b32 v13, v16, v10, v12
	v_alignbit_b32 v9, v10, v9, v12
	v_lshrrev_b32_e32 v10, 29, v2
	v_lshrrev_b32_e32 v2, 30, v2
	s_delay_alu instid0(VALU_DEP_3) | instskip(NEXT) | instid1(VALU_DEP_3)
	v_alignbit_b32 v12, v13, v9, 9
	v_lshlrev_b32_e32 v10, 31, v10
	v_alignbit_b32 v13, v11, v13, 9
	s_delay_alu instid0(VALU_DEP_3) | instskip(NEXT) | instid1(VALU_DEP_2)
	v_clz_i32_u32_e32 v15, v12
	v_or_b32_e32 v13, v13, v10
	v_or_b32_e32 v10, 0x33800000, v10
	s_delay_alu instid0(VALU_DEP_3) | instskip(NEXT) | instid1(VALU_DEP_3)
	v_min_u32_e32 v15, 32, v15
	v_xor_b32_e32 v13, 1.0, v13
	s_delay_alu instid0(VALU_DEP_2) | instskip(SKIP_1) | instid1(VALU_DEP_3)
	v_sub_nc_u32_e32 v16, 31, v15
	v_add_lshl_u32 v11, v15, v11, 23
	v_mul_f32_e32 v15, 0x3fc90fda, v13
	s_delay_alu instid0(VALU_DEP_3) | instskip(NEXT) | instid1(VALU_DEP_3)
	v_alignbit_b32 v9, v12, v9, v16
	v_sub_nc_u32_e32 v10, v10, v11
	s_delay_alu instid0(VALU_DEP_3) | instskip(NEXT) | instid1(VALU_DEP_3)
	v_fma_f32 v11, 0x3fc90fda, v13, -v15
	v_lshrrev_b32_e32 v9, 9, v9
	s_delay_alu instid0(VALU_DEP_2) | instskip(NEXT) | instid1(VALU_DEP_2)
	v_fmac_f32_e32 v11, 0x33a22168, v13
	v_or_b32_e32 v9, v10, v9
	s_delay_alu instid0(VALU_DEP_1) | instskip(NEXT) | instid1(VALU_DEP_1)
	v_fmac_f32_e32 v11, 0x3fc90fda, v9
	v_add_f32_e32 v9, v15, v11
	v_add_nc_u32_e32 v11, v14, v2
                                        ; implicit-def: $vgpr2
	s_and_not1_saveexec_b32 s3, s28
	s_cbranch_execnz .LBB6_9
	s_branch .LBB6_10
.LBB6_8:                                ;   in Loop: Header=BB6_2 Depth=1
	s_and_not1_saveexec_b32 s3, s28
.LBB6_9:                                ;   in Loop: Header=BB6_2 Depth=1
	v_fma_f32 v9, 0xbfc90fda, v2, |v5|
	v_cvt_i32_f32_e32 v11, v2
	s_delay_alu instid0(VALU_DEP_2) | instskip(NEXT) | instid1(VALU_DEP_1)
	v_fmac_f32_e32 v9, 0xb3a22168, v2
	v_fmac_f32_e32 v9, 0xa7c234c4, v2
.LBB6_10:                               ;   in Loop: Header=BB6_2 Depth=1
	s_or_b32 exec_lo, exec_lo, s3
	v_add_co_u32 v12, vcc_lo, s14, v0
	v_add_co_ci_u32_e32 v13, vcc_lo, s15, v1, vcc_lo
                                        ; implicit-def: $vgpr14
	global_load_b32 v10, v[12:13], off
                                        ; implicit-def: $vgpr13
	s_waitcnt vmcnt(0)
	v_and_b32_e32 v12, 0x7fffffff, v10
	v_cmp_ngt_f32_e64 s28, 0x48000000, |v10|
	s_delay_alu instid0(VALU_DEP_2) | instskip(SKIP_1) | instid1(VALU_DEP_2)
	v_lshrrev_b32_e32 v2, 23, v12
	v_and_or_b32 v16, v12, s25, 0x800000
	v_add_nc_u32_e32 v18, 0xffffff88, v2
	s_delay_alu instid0(VALU_DEP_4) | instskip(NEXT) | instid1(SALU_CYCLE_1)
	s_and_saveexec_b32 s3, s28
	s_xor_b32 s29, exec_lo, s3
	s_cbranch_execz .LBB6_12
; %bb.11:                               ;   in Loop: Header=BB6_2 Depth=1
	v_mad_u64_u32 v[13:14], null, 0xfe5163ab, v16, 0
	v_cmp_lt_u32_e32 vcc_lo, 63, v18
	s_delay_alu instid0(VALU_DEP_2) | instskip(NEXT) | instid1(VALU_DEP_1)
	v_mov_b32_e32 v2, v14
	v_mad_u64_u32 v[14:15], null, 0x3c439041, v16, v[2:3]
	s_delay_alu instid0(VALU_DEP_1) | instskip(SKIP_1) | instid1(VALU_DEP_1)
	v_mov_b32_e32 v2, v15
	v_cndmask_b32_e64 v15, 0, 0xffffffc0, vcc_lo
	v_add_nc_u32_e32 v15, v15, v18
	s_delay_alu instid0(VALU_DEP_1) | instskip(NEXT) | instid1(VALU_DEP_1)
	v_cmp_lt_u32_e64 s3, 31, v15
	v_cndmask_b32_e64 v17, 0, 0xffffffe0, s3
	s_delay_alu instid0(VALU_DEP_1) | instskip(SKIP_1) | instid1(VALU_DEP_2)
	v_add_nc_u32_e32 v15, v17, v15
	v_mad_u64_u32 v[19:20], null, 0xdb629599, v16, v[2:3]
	v_cmp_lt_u32_e64 s4, 31, v15
	s_delay_alu instid0(VALU_DEP_2) | instskip(NEXT) | instid1(VALU_DEP_1)
	v_dual_mov_b32 v2, v20 :: v_dual_cndmask_b32 v13, v19, v13
	v_mad_u64_u32 v[20:21], null, 0xf534ddc0, v16, v[2:3]
	s_delay_alu instid0(VALU_DEP_1) | instskip(NEXT) | instid1(VALU_DEP_2)
	v_mov_b32_e32 v2, v21
	v_cndmask_b32_e32 v14, v20, v14, vcc_lo
	s_delay_alu instid0(VALU_DEP_2) | instskip(NEXT) | instid1(VALU_DEP_2)
	v_mad_u64_u32 v[21:22], null, 0xfc2757d1, v16, v[2:3]
	v_cndmask_b32_e64 v13, v14, v13, s3
	s_delay_alu instid0(VALU_DEP_2) | instskip(NEXT) | instid1(VALU_DEP_1)
	v_mov_b32_e32 v2, v22
	v_mad_u64_u32 v[22:23], null, 0x4e441529, v16, v[2:3]
	s_delay_alu instid0(VALU_DEP_1) | instskip(NEXT) | instid1(VALU_DEP_1)
	v_dual_mov_b32 v2, v23 :: v_dual_cndmask_b32 v17, v22, v20
	v_mad_u64_u32 v[23:24], null, 0xa2f9836e, v16, v[2:3]
	v_cndmask_b32_e64 v2, 0, 0xffffffe0, s4
	s_delay_alu instid0(VALU_DEP_1) | instskip(NEXT) | instid1(VALU_DEP_3)
	v_dual_cndmask_b32 v23, v23, v21 :: v_dual_add_nc_u32 v2, v2, v15
	v_dual_cndmask_b32 v22, v24, v22 :: v_dual_cndmask_b32 v21, v21, v19
	s_delay_alu instid0(VALU_DEP_2) | instskip(NEXT) | instid1(VALU_DEP_3)
	v_cmp_eq_u32_e64 s5, 0, v2
	v_cndmask_b32_e64 v15, v23, v17, s3
	s_delay_alu instid0(VALU_DEP_3) | instskip(NEXT) | instid1(VALU_DEP_4)
	v_cndmask_b32_e64 v20, v22, v23, s3
	v_cndmask_b32_e64 v17, v17, v21, s3
	v_sub_nc_u32_e32 v22, 32, v2
	v_cndmask_b32_e64 v21, v21, v14, s3
	s_delay_alu instid0(VALU_DEP_4) | instskip(NEXT) | instid1(VALU_DEP_4)
	v_cndmask_b32_e64 v20, v20, v15, s4
	v_cndmask_b32_e64 v15, v15, v17, s4
	s_delay_alu instid0(VALU_DEP_3) | instskip(SKIP_1) | instid1(VALU_DEP_3)
	v_cndmask_b32_e64 v17, v17, v21, s4
	v_cndmask_b32_e64 v13, v21, v13, s4
	v_alignbit_b32 v23, v20, v15, v22
	s_delay_alu instid0(VALU_DEP_3) | instskip(NEXT) | instid1(VALU_DEP_3)
	v_alignbit_b32 v24, v15, v17, v22
	v_alignbit_b32 v22, v17, v13, v22
	s_delay_alu instid0(VALU_DEP_3) | instskip(NEXT) | instid1(VALU_DEP_3)
	v_cndmask_b32_e64 v2, v23, v20, s5
	v_cndmask_b32_e64 v15, v24, v15, s5
	s_delay_alu instid0(VALU_DEP_3) | instskip(NEXT) | instid1(VALU_DEP_3)
	v_cndmask_b32_e64 v17, v22, v17, s5
	v_bfe_u32 v19, v2, 29, 1
	s_delay_alu instid0(VALU_DEP_3) | instskip(NEXT) | instid1(VALU_DEP_3)
	v_alignbit_b32 v14, v2, v15, 30
	v_alignbit_b32 v15, v15, v17, 30
	;; [unrolled: 1-line block ×3, first 2 shown]
	s_delay_alu instid0(VALU_DEP_4) | instskip(NEXT) | instid1(VALU_DEP_1)
	v_sub_nc_u32_e32 v20, 0, v19
	v_xor_b32_e32 v21, v14, v20
	v_cmp_ne_u32_e32 vcc_lo, v14, v20
	v_xor_b32_e32 v15, v15, v20
	v_xor_b32_e32 v13, v13, v20
	s_delay_alu instid0(VALU_DEP_4) | instskip(NEXT) | instid1(VALU_DEP_1)
	v_clz_i32_u32_e32 v23, v21
	v_add_nc_u32_e32 v22, 1, v23
	s_delay_alu instid0(VALU_DEP_1) | instskip(NEXT) | instid1(VALU_DEP_1)
	v_cndmask_b32_e32 v14, 33, v22, vcc_lo
	v_sub_nc_u32_e32 v17, 32, v14
	s_delay_alu instid0(VALU_DEP_1) | instskip(SKIP_3) | instid1(VALU_DEP_3)
	v_alignbit_b32 v20, v21, v15, v17
	v_alignbit_b32 v13, v15, v13, v17
	v_lshrrev_b32_e32 v15, 29, v2
	v_lshrrev_b32_e32 v2, 30, v2
	v_alignbit_b32 v17, v20, v13, 9
	s_delay_alu instid0(VALU_DEP_3) | instskip(SKIP_1) | instid1(VALU_DEP_3)
	v_lshlrev_b32_e32 v15, 31, v15
	v_alignbit_b32 v20, v14, v20, 9
	v_clz_i32_u32_e32 v21, v17
	s_delay_alu instid0(VALU_DEP_2) | instskip(SKIP_1) | instid1(VALU_DEP_3)
	v_or_b32_e32 v20, v20, v15
	v_or_b32_e32 v15, 0x33800000, v15
	v_min_u32_e32 v21, 32, v21
	s_delay_alu instid0(VALU_DEP_3) | instskip(NEXT) | instid1(VALU_DEP_2)
	v_xor_b32_e32 v20, 1.0, v20
	v_sub_nc_u32_e32 v22, 31, v21
	v_add_lshl_u32 v14, v21, v14, 23
	s_delay_alu instid0(VALU_DEP_3) | instskip(NEXT) | instid1(VALU_DEP_3)
	v_mul_f32_e32 v21, 0x3fc90fda, v20
	v_alignbit_b32 v13, v17, v13, v22
	s_delay_alu instid0(VALU_DEP_3) | instskip(NEXT) | instid1(VALU_DEP_3)
	v_sub_nc_u32_e32 v14, v15, v14
	v_fma_f32 v15, 0x3fc90fda, v20, -v21
	s_delay_alu instid0(VALU_DEP_3) | instskip(NEXT) | instid1(VALU_DEP_2)
	v_lshrrev_b32_e32 v13, 9, v13
	v_fmac_f32_e32 v15, 0x33a22168, v20
	s_delay_alu instid0(VALU_DEP_2) | instskip(NEXT) | instid1(VALU_DEP_1)
	v_or_b32_e32 v13, v14, v13
	v_dual_fmac_f32 v15, 0x3fc90fda, v13 :: v_dual_add_nc_u32 v14, v19, v2
	s_delay_alu instid0(VALU_DEP_1)
	v_add_f32_e32 v13, v21, v15
.LBB6_12:                               ;   in Loop: Header=BB6_2 Depth=1
	s_or_saveexec_b32 s3, s29
	v_mul_f32_e64 v2, 0x3f22f983, |v10|
	s_delay_alu instid0(VALU_DEP_1)
	v_rndne_f32_e32 v2, v2
	s_xor_b32 exec_lo, exec_lo, s3
; %bb.13:                               ;   in Loop: Header=BB6_2 Depth=1
	s_delay_alu instid0(VALU_DEP_1) | instskip(SKIP_1) | instid1(VALU_DEP_2)
	v_fma_f32 v13, 0xbfc90fda, v2, |v10|
	v_cvt_i32_f32_e32 v14, v2
	v_fmac_f32_e32 v13, 0xb3a22168, v2
	s_delay_alu instid0(VALU_DEP_1)
	v_fmac_f32_e32 v13, 0xa7c234c4, v2
; %bb.14:                               ;   in Loop: Header=BB6_2 Depth=1
	s_or_b32 exec_lo, exec_lo, s3
                                        ; implicit-def: $vgpr17
                                        ; implicit-def: $vgpr15
	s_and_saveexec_b32 s3, s28
	s_delay_alu instid0(SALU_CYCLE_1)
	s_xor_b32 s28, exec_lo, s3
	s_cbranch_execz .LBB6_16
; %bb.15:                               ;   in Loop: Header=BB6_2 Depth=1
	v_mad_u64_u32 v[19:20], null, 0xfe5163ab, v16, 0
	v_cmp_lt_u32_e32 vcc_lo, 63, v18
	v_cndmask_b32_e64 v15, 0, 0xffffffc0, vcc_lo
	s_delay_alu instid0(VALU_DEP_1) | instskip(NEXT) | instid1(VALU_DEP_1)
	v_dual_mov_b32 v2, v20 :: v_dual_add_nc_u32 v15, v15, v18
	v_mad_u64_u32 v[20:21], null, 0x3c439041, v16, v[2:3]
	s_delay_alu instid0(VALU_DEP_2) | instskip(NEXT) | instid1(VALU_DEP_2)
	v_cmp_lt_u32_e64 s3, 31, v15
	v_mov_b32_e32 v2, v21
	s_delay_alu instid0(VALU_DEP_1) | instskip(NEXT) | instid1(VALU_DEP_1)
	v_mad_u64_u32 v[21:22], null, 0xdb629599, v16, v[2:3]
	v_mov_b32_e32 v2, v22
	s_delay_alu instid0(VALU_DEP_1) | instskip(NEXT) | instid1(VALU_DEP_1)
	v_mad_u64_u32 v[22:23], null, 0xf534ddc0, v16, v[2:3]
	;; [unrolled: 3-line block ×3, first 2 shown]
	v_mov_b32_e32 v2, v24
	v_cndmask_b32_e64 v24, 0, 0xffffffe0, s3
	s_delay_alu instid0(VALU_DEP_2) | instskip(NEXT) | instid1(VALU_DEP_2)
	v_mad_u64_u32 v[17:18], null, 0x4e441529, v16, v[2:3]
	v_add_nc_u32_e32 v15, v24, v15
	s_delay_alu instid0(VALU_DEP_1) | instskip(NEXT) | instid1(VALU_DEP_3)
	v_cmp_lt_u32_e64 s4, 31, v15
	v_mov_b32_e32 v2, v18
	s_delay_alu instid0(VALU_DEP_1) | instskip(NEXT) | instid1(VALU_DEP_3)
	v_mad_u64_u32 v[24:25], null, 0xa2f9836e, v16, v[2:3]
	v_cndmask_b32_e64 v2, 0, 0xffffffe0, s4
	v_cndmask_b32_e32 v16, v17, v22, vcc_lo
	s_delay_alu instid0(VALU_DEP_2) | instskip(NEXT) | instid1(VALU_DEP_4)
	v_add_nc_u32_e32 v2, v2, v15
	v_dual_cndmask_b32 v18, v24, v23 :: v_dual_cndmask_b32 v17, v25, v17
	v_cndmask_b32_e32 v23, v23, v21, vcc_lo
	v_cndmask_b32_e32 v15, v22, v20, vcc_lo
	s_delay_alu instid0(VALU_DEP_4) | instskip(NEXT) | instid1(VALU_DEP_4)
	v_cmp_eq_u32_e64 s5, 0, v2
	v_cndmask_b32_e64 v20, v18, v16, s3
	v_cndmask_b32_e64 v17, v17, v18, s3
	;; [unrolled: 1-line block ×3, first 2 shown]
	v_sub_nc_u32_e32 v18, 32, v2
	v_cndmask_b32_e64 v22, v23, v15, s3
	s_delay_alu instid0(VALU_DEP_4) | instskip(NEXT) | instid1(VALU_DEP_4)
	v_cndmask_b32_e64 v17, v17, v20, s4
	v_cndmask_b32_e64 v20, v20, v16, s4
	s_delay_alu instid0(VALU_DEP_3) | instskip(NEXT) | instid1(VALU_DEP_2)
	v_cndmask_b32_e64 v16, v16, v22, s4
	v_alignbit_b32 v23, v17, v20, v18
	s_delay_alu instid0(VALU_DEP_2) | instskip(NEXT) | instid1(VALU_DEP_2)
	v_alignbit_b32 v24, v20, v16, v18
	v_cndmask_b32_e64 v2, v23, v17, s5
	v_cndmask_b32_e32 v17, v21, v19, vcc_lo
	s_delay_alu instid0(VALU_DEP_3) | instskip(NEXT) | instid1(VALU_DEP_3)
	v_cndmask_b32_e64 v19, v24, v20, s5
	v_bfe_u32 v20, v2, 29, 1
	s_delay_alu instid0(VALU_DEP_3) | instskip(NEXT) | instid1(VALU_DEP_3)
	v_cndmask_b32_e64 v15, v15, v17, s3
	v_alignbit_b32 v17, v2, v19, 30
	s_delay_alu instid0(VALU_DEP_3) | instskip(NEXT) | instid1(VALU_DEP_3)
	v_sub_nc_u32_e32 v21, 0, v20
	v_cndmask_b32_e64 v15, v22, v15, s4
	s_delay_alu instid0(VALU_DEP_2) | instskip(NEXT) | instid1(VALU_DEP_2)
	v_xor_b32_e32 v22, v17, v21
	v_alignbit_b32 v18, v16, v15, v18
	v_cmp_ne_u32_e32 vcc_lo, v17, v21
	s_delay_alu instid0(VALU_DEP_3) | instskip(NEXT) | instid1(VALU_DEP_3)
	v_clz_i32_u32_e32 v23, v22
	v_cndmask_b32_e64 v16, v18, v16, s5
	s_delay_alu instid0(VALU_DEP_2) | instskip(NEXT) | instid1(VALU_DEP_2)
	v_add_nc_u32_e32 v18, 1, v23
	v_alignbit_b32 v19, v19, v16, 30
	v_alignbit_b32 v15, v16, v15, 30
	s_delay_alu instid0(VALU_DEP_3) | instskip(NEXT) | instid1(VALU_DEP_3)
	v_cndmask_b32_e32 v17, 33, v18, vcc_lo
	v_xor_b32_e32 v16, v19, v21
	s_delay_alu instid0(VALU_DEP_3) | instskip(NEXT) | instid1(VALU_DEP_3)
	v_xor_b32_e32 v15, v15, v21
	v_sub_nc_u32_e32 v18, 32, v17
	s_delay_alu instid0(VALU_DEP_1) | instskip(NEXT) | instid1(VALU_DEP_3)
	v_alignbit_b32 v19, v22, v16, v18
	v_alignbit_b32 v15, v16, v15, v18
	v_lshrrev_b32_e32 v16, 29, v2
	v_lshrrev_b32_e32 v2, 30, v2
	s_delay_alu instid0(VALU_DEP_3) | instskip(NEXT) | instid1(VALU_DEP_3)
	v_alignbit_b32 v18, v19, v15, 9
	v_lshlrev_b32_e32 v16, 31, v16
	v_alignbit_b32 v19, v17, v19, 9
	s_delay_alu instid0(VALU_DEP_3) | instskip(NEXT) | instid1(VALU_DEP_2)
	v_clz_i32_u32_e32 v21, v18
	v_or_b32_e32 v19, v19, v16
	v_or_b32_e32 v16, 0x33800000, v16
	s_delay_alu instid0(VALU_DEP_3) | instskip(NEXT) | instid1(VALU_DEP_3)
	v_min_u32_e32 v21, 32, v21
	v_xor_b32_e32 v19, 1.0, v19
	s_delay_alu instid0(VALU_DEP_2) | instskip(SKIP_1) | instid1(VALU_DEP_3)
	v_sub_nc_u32_e32 v22, 31, v21
	v_add_lshl_u32 v17, v21, v17, 23
	v_mul_f32_e32 v21, 0x3fc90fda, v19
	s_delay_alu instid0(VALU_DEP_3) | instskip(NEXT) | instid1(VALU_DEP_3)
	v_alignbit_b32 v15, v18, v15, v22
	v_sub_nc_u32_e32 v16, v16, v17
	s_delay_alu instid0(VALU_DEP_3) | instskip(NEXT) | instid1(VALU_DEP_3)
	v_fma_f32 v17, 0x3fc90fda, v19, -v21
	v_lshrrev_b32_e32 v15, 9, v15
	s_delay_alu instid0(VALU_DEP_2) | instskip(NEXT) | instid1(VALU_DEP_2)
	v_fmac_f32_e32 v17, 0x33a22168, v19
	v_or_b32_e32 v15, v16, v15
	s_delay_alu instid0(VALU_DEP_1) | instskip(NEXT) | instid1(VALU_DEP_1)
	v_fmac_f32_e32 v17, 0x3fc90fda, v15
	v_add_f32_e32 v15, v21, v17
	v_add_nc_u32_e32 v17, v20, v2
                                        ; implicit-def: $vgpr2
	s_and_not1_saveexec_b32 s3, s28
	s_cbranch_execnz .LBB6_17
	s_branch .LBB6_18
.LBB6_16:                               ;   in Loop: Header=BB6_2 Depth=1
	s_and_not1_saveexec_b32 s3, s28
.LBB6_17:                               ;   in Loop: Header=BB6_2 Depth=1
	v_fma_f32 v15, 0xbfc90fda, v2, |v10|
	v_cvt_i32_f32_e32 v17, v2
	s_delay_alu instid0(VALU_DEP_2) | instskip(NEXT) | instid1(VALU_DEP_1)
	v_fmac_f32_e32 v15, 0xb3a22168, v2
	v_fmac_f32_e32 v15, 0xa7c234c4, v2
.LBB6_18:                               ;   in Loop: Header=BB6_2 Depth=1
	s_or_b32 exec_lo, exec_lo, s3
	v_add_co_u32 v18, vcc_lo, s16, v0
	v_add_co_ci_u32_e32 v19, vcc_lo, s17, v1, vcc_lo
                                        ; implicit-def: $vgpr20
	global_load_b32 v16, v[18:19], off
                                        ; implicit-def: $vgpr19
	s_waitcnt vmcnt(0)
	v_and_b32_e32 v18, 0x7fffffff, v16
	v_cmp_ngt_f32_e64 s28, 0x48000000, |v16|
	s_delay_alu instid0(VALU_DEP_2) | instskip(SKIP_1) | instid1(VALU_DEP_2)
	v_lshrrev_b32_e32 v2, 23, v18
	v_and_or_b32 v21, v18, s25, 0x800000
	v_add_nc_u32_e32 v22, 0xffffff88, v2
	s_delay_alu instid0(VALU_DEP_4) | instskip(NEXT) | instid1(SALU_CYCLE_1)
	s_and_saveexec_b32 s3, s28
	s_xor_b32 s29, exec_lo, s3
	s_cbranch_execz .LBB6_20
; %bb.19:                               ;   in Loop: Header=BB6_2 Depth=1
	v_mad_u64_u32 v[19:20], null, 0xfe5163ab, v21, 0
	v_cmp_lt_u32_e32 vcc_lo, 63, v22
	s_delay_alu instid0(VALU_DEP_2) | instskip(SKIP_1) | instid1(VALU_DEP_2)
	v_mov_b32_e32 v2, v20
	v_cndmask_b32_e64 v20, 0, 0xffffffc0, vcc_lo
	v_mad_u64_u32 v[23:24], null, 0x3c439041, v21, v[2:3]
	s_delay_alu instid0(VALU_DEP_2) | instskip(NEXT) | instid1(VALU_DEP_1)
	v_add_nc_u32_e32 v20, v20, v22
	v_cmp_lt_u32_e64 s3, 31, v20
	s_delay_alu instid0(VALU_DEP_3) | instskip(NEXT) | instid1(VALU_DEP_2)
	v_mov_b32_e32 v2, v24
	v_cndmask_b32_e64 v29, 0, 0xffffffe0, s3
	s_delay_alu instid0(VALU_DEP_2) | instskip(NEXT) | instid1(VALU_DEP_2)
	v_mad_u64_u32 v[24:25], null, 0xdb629599, v21, v[2:3]
	v_add_nc_u32_e32 v20, v29, v20
	s_delay_alu instid0(VALU_DEP_2) | instskip(NEXT) | instid1(VALU_DEP_2)
	v_dual_mov_b32 v2, v25 :: v_dual_cndmask_b32 v19, v24, v19
	v_cmp_lt_u32_e64 s4, 31, v20
	s_delay_alu instid0(VALU_DEP_2) | instskip(NEXT) | instid1(VALU_DEP_1)
	v_mad_u64_u32 v[25:26], null, 0xf534ddc0, v21, v[2:3]
	v_mov_b32_e32 v2, v26
	s_delay_alu instid0(VALU_DEP_1) | instskip(NEXT) | instid1(VALU_DEP_1)
	v_mad_u64_u32 v[26:27], null, 0xfc2757d1, v21, v[2:3]
	v_mov_b32_e32 v2, v27
	s_delay_alu instid0(VALU_DEP_1) | instskip(NEXT) | instid1(VALU_DEP_1)
	v_mad_u64_u32 v[27:28], null, 0x4e441529, v21, v[2:3]
	v_mov_b32_e32 v2, v28
	s_delay_alu instid0(VALU_DEP_2) | instskip(NEXT) | instid1(VALU_DEP_2)
	v_cndmask_b32_e32 v30, v27, v25, vcc_lo
	v_mad_u64_u32 v[28:29], null, 0xa2f9836e, v21, v[2:3]
	v_cndmask_b32_e64 v2, 0, 0xffffffe0, s4
	s_delay_alu instid0(VALU_DEP_1) | instskip(NEXT) | instid1(VALU_DEP_3)
	v_add_nc_u32_e32 v2, v2, v20
	v_dual_cndmask_b32 v28, v28, v26 :: v_dual_cndmask_b32 v27, v29, v27
	v_cndmask_b32_e32 v26, v26, v24, vcc_lo
	v_cndmask_b32_e32 v20, v25, v23, vcc_lo
	s_delay_alu instid0(VALU_DEP_4) | instskip(NEXT) | instid1(VALU_DEP_4)
	v_cmp_eq_u32_e64 s5, 0, v2
	v_cndmask_b32_e64 v23, v28, v30, s3
	v_cndmask_b32_e64 v25, v27, v28, s3
	;; [unrolled: 1-line block ×3, first 2 shown]
	v_sub_nc_u32_e32 v28, 32, v2
	v_cndmask_b32_e64 v26, v26, v20, s3
	v_cndmask_b32_e64 v19, v20, v19, s3
	;; [unrolled: 1-line block ×4, first 2 shown]
	s_delay_alu instid0(VALU_DEP_4) | instskip(NEXT) | instid1(VALU_DEP_4)
	v_cndmask_b32_e64 v27, v27, v26, s4
	v_cndmask_b32_e64 v19, v26, v19, s4
	s_delay_alu instid0(VALU_DEP_3) | instskip(NEXT) | instid1(VALU_DEP_3)
	v_alignbit_b32 v29, v25, v23, v28
	v_alignbit_b32 v30, v23, v27, v28
	s_delay_alu instid0(VALU_DEP_3) | instskip(NEXT) | instid1(VALU_DEP_3)
	v_alignbit_b32 v28, v27, v19, v28
	v_cndmask_b32_e64 v2, v29, v25, s5
	s_delay_alu instid0(VALU_DEP_3) | instskip(NEXT) | instid1(VALU_DEP_3)
	v_cndmask_b32_e64 v23, v30, v23, s5
	v_cndmask_b32_e64 v27, v28, v27, s5
	s_delay_alu instid0(VALU_DEP_3) | instskip(NEXT) | instid1(VALU_DEP_3)
	v_bfe_u32 v24, v2, 29, 1
	v_alignbit_b32 v20, v2, v23, 30
	s_delay_alu instid0(VALU_DEP_3) | instskip(SKIP_1) | instid1(VALU_DEP_4)
	v_alignbit_b32 v23, v23, v27, 30
	v_alignbit_b32 v19, v27, v19, 30
	v_sub_nc_u32_e32 v25, 0, v24
	s_delay_alu instid0(VALU_DEP_1) | instskip(SKIP_3) | instid1(VALU_DEP_4)
	v_xor_b32_e32 v26, v20, v25
	v_cmp_ne_u32_e32 vcc_lo, v20, v25
	v_xor_b32_e32 v23, v23, v25
	v_xor_b32_e32 v19, v19, v25
	v_clz_i32_u32_e32 v29, v26
	s_delay_alu instid0(VALU_DEP_1) | instskip(NEXT) | instid1(VALU_DEP_1)
	v_add_nc_u32_e32 v28, 1, v29
	v_cndmask_b32_e32 v20, 33, v28, vcc_lo
	s_delay_alu instid0(VALU_DEP_1) | instskip(NEXT) | instid1(VALU_DEP_1)
	v_sub_nc_u32_e32 v27, 32, v20
	v_alignbit_b32 v25, v26, v23, v27
	v_alignbit_b32 v19, v23, v19, v27
	v_lshrrev_b32_e32 v23, 29, v2
	v_lshrrev_b32_e32 v2, 30, v2
	s_delay_alu instid0(VALU_DEP_3) | instskip(NEXT) | instid1(VALU_DEP_3)
	v_alignbit_b32 v26, v25, v19, 9
	v_lshlrev_b32_e32 v23, 31, v23
	v_alignbit_b32 v25, v20, v25, 9
	s_delay_alu instid0(VALU_DEP_3) | instskip(NEXT) | instid1(VALU_DEP_2)
	v_clz_i32_u32_e32 v27, v26
	v_or_b32_e32 v25, v25, v23
	v_or_b32_e32 v23, 0x33800000, v23
	s_delay_alu instid0(VALU_DEP_3) | instskip(NEXT) | instid1(VALU_DEP_3)
	v_min_u32_e32 v27, 32, v27
	v_xor_b32_e32 v25, 1.0, v25
	s_delay_alu instid0(VALU_DEP_2) | instskip(SKIP_1) | instid1(VALU_DEP_3)
	v_sub_nc_u32_e32 v28, 31, v27
	v_add_lshl_u32 v20, v27, v20, 23
	v_mul_f32_e32 v27, 0x3fc90fda, v25
	s_delay_alu instid0(VALU_DEP_3) | instskip(NEXT) | instid1(VALU_DEP_3)
	v_alignbit_b32 v19, v26, v19, v28
	v_sub_nc_u32_e32 v20, v23, v20
	s_delay_alu instid0(VALU_DEP_3) | instskip(NEXT) | instid1(VALU_DEP_3)
	v_fma_f32 v23, 0x3fc90fda, v25, -v27
	v_lshrrev_b32_e32 v19, 9, v19
	s_delay_alu instid0(VALU_DEP_2) | instskip(NEXT) | instid1(VALU_DEP_2)
	v_fmac_f32_e32 v23, 0x33a22168, v25
	v_or_b32_e32 v19, v20, v19
	s_delay_alu instid0(VALU_DEP_1) | instskip(NEXT) | instid1(VALU_DEP_1)
	v_dual_fmac_f32 v23, 0x3fc90fda, v19 :: v_dual_add_nc_u32 v20, v24, v2
	v_add_f32_e32 v19, v27, v23
.LBB6_20:                               ;   in Loop: Header=BB6_2 Depth=1
	s_or_saveexec_b32 s3, s29
	v_mul_f32_e64 v2, 0x3f22f983, |v16|
	s_delay_alu instid0(VALU_DEP_1)
	v_rndne_f32_e32 v24, v2
	s_xor_b32 exec_lo, exec_lo, s3
; %bb.21:                               ;   in Loop: Header=BB6_2 Depth=1
	s_delay_alu instid0(VALU_DEP_1) | instskip(SKIP_1) | instid1(VALU_DEP_2)
	v_fma_f32 v19, 0xbfc90fda, v24, |v16|
	v_cvt_i32_f32_e32 v20, v24
	v_fmac_f32_e32 v19, 0xb3a22168, v24
	s_delay_alu instid0(VALU_DEP_1)
	v_fmac_f32_e32 v19, 0xa7c234c4, v24
; %bb.22:                               ;   in Loop: Header=BB6_2 Depth=1
	s_or_b32 exec_lo, exec_lo, s3
                                        ; implicit-def: $vgpr23
                                        ; implicit-def: $vgpr2
	s_and_saveexec_b32 s3, s28
	s_delay_alu instid0(SALU_CYCLE_1)
	s_xor_b32 s28, exec_lo, s3
	s_cbranch_execz .LBB6_24
; %bb.23:                               ;   in Loop: Header=BB6_2 Depth=1
	v_mad_u64_u32 v[23:24], null, 0xfe5163ab, v21, 0
	v_cmp_lt_u32_e32 vcc_lo, 63, v22
	v_cndmask_b32_e64 v29, 0, 0xffffffc0, vcc_lo
	s_delay_alu instid0(VALU_DEP_3) | instskip(NEXT) | instid1(VALU_DEP_2)
	v_mov_b32_e32 v2, v24
	v_add_nc_u32_e32 v22, v29, v22
	s_delay_alu instid0(VALU_DEP_2) | instskip(NEXT) | instid1(VALU_DEP_2)
	v_mad_u64_u32 v[24:25], null, 0x3c439041, v21, v[2:3]
	v_cmp_lt_u32_e64 s3, 31, v22
	s_delay_alu instid0(VALU_DEP_2) | instskip(NEXT) | instid1(VALU_DEP_2)
	v_mov_b32_e32 v2, v25
	v_cndmask_b32_e64 v30, 0, 0xffffffe0, s3
	s_delay_alu instid0(VALU_DEP_2) | instskip(NEXT) | instid1(VALU_DEP_2)
	v_mad_u64_u32 v[25:26], null, 0xdb629599, v21, v[2:3]
	v_add_nc_u32_e32 v22, v30, v22
	s_delay_alu instid0(VALU_DEP_1) | instskip(NEXT) | instid1(VALU_DEP_3)
	v_cmp_lt_u32_e64 s4, 31, v22
	v_dual_mov_b32 v2, v26 :: v_dual_cndmask_b32 v23, v25, v23
	s_delay_alu instid0(VALU_DEP_1) | instskip(NEXT) | instid1(VALU_DEP_1)
	v_mad_u64_u32 v[26:27], null, 0xf534ddc0, v21, v[2:3]
	v_mov_b32_e32 v2, v27
	s_delay_alu instid0(VALU_DEP_1) | instskip(NEXT) | instid1(VALU_DEP_1)
	v_mad_u64_u32 v[27:28], null, 0xfc2757d1, v21, v[2:3]
	v_mov_b32_e32 v2, v28
	;; [unrolled: 3-line block ×3, first 2 shown]
	s_delay_alu instid0(VALU_DEP_1) | instskip(SKIP_1) | instid1(VALU_DEP_4)
	v_mad_u64_u32 v[29:30], null, 0xa2f9836e, v21, v[2:3]
	v_cndmask_b32_e64 v2, 0, 0xffffffe0, s4
	v_cndmask_b32_e32 v21, v28, v26, vcc_lo
	s_delay_alu instid0(VALU_DEP_2) | instskip(NEXT) | instid1(VALU_DEP_4)
	v_dual_cndmask_b32 v29, v29, v27 :: v_dual_add_nc_u32 v2, v2, v22
	v_dual_cndmask_b32 v28, v30, v28 :: v_dual_cndmask_b32 v27, v27, v25
	v_cndmask_b32_e32 v22, v26, v24, vcc_lo
	s_delay_alu instid0(VALU_DEP_3) | instskip(NEXT) | instid1(VALU_DEP_4)
	v_cmp_eq_u32_e64 s5, 0, v2
	v_cndmask_b32_e64 v24, v29, v21, s3
	s_delay_alu instid0(VALU_DEP_4)
	v_cndmask_b32_e64 v26, v28, v29, s3
	v_cndmask_b32_e64 v21, v21, v27, s3
	v_sub_nc_u32_e32 v28, 32, v2
	v_cndmask_b32_e64 v27, v27, v22, s3
	v_cndmask_b32_e64 v22, v22, v23, s3
	;; [unrolled: 1-line block ×4, first 2 shown]
	s_delay_alu instid0(VALU_DEP_4) | instskip(NEXT) | instid1(VALU_DEP_4)
	v_cndmask_b32_e64 v21, v21, v27, s4
	v_cndmask_b32_e64 v22, v27, v22, s4
	s_delay_alu instid0(VALU_DEP_3) | instskip(NEXT) | instid1(VALU_DEP_3)
	v_alignbit_b32 v29, v26, v24, v28
	v_alignbit_b32 v30, v24, v21, v28
	s_delay_alu instid0(VALU_DEP_3) | instskip(NEXT) | instid1(VALU_DEP_3)
	v_alignbit_b32 v28, v21, v22, v28
	v_cndmask_b32_e64 v2, v29, v26, s5
	s_delay_alu instid0(VALU_DEP_3) | instskip(NEXT) | instid1(VALU_DEP_3)
	v_cndmask_b32_e64 v24, v30, v24, s5
	v_cndmask_b32_e64 v21, v28, v21, s5
	s_delay_alu instid0(VALU_DEP_3) | instskip(NEXT) | instid1(VALU_DEP_3)
	v_bfe_u32 v25, v2, 29, 1
	v_alignbit_b32 v23, v2, v24, 30
	s_delay_alu instid0(VALU_DEP_3) | instskip(SKIP_1) | instid1(VALU_DEP_4)
	v_alignbit_b32 v24, v24, v21, 30
	v_alignbit_b32 v21, v21, v22, 30
	v_sub_nc_u32_e32 v26, 0, v25
	s_delay_alu instid0(VALU_DEP_1) | instskip(SKIP_3) | instid1(VALU_DEP_4)
	v_xor_b32_e32 v27, v23, v26
	v_cmp_ne_u32_e32 vcc_lo, v23, v26
	v_xor_b32_e32 v22, v24, v26
	v_xor_b32_e32 v21, v21, v26
	v_clz_i32_u32_e32 v29, v27
	s_delay_alu instid0(VALU_DEP_1) | instskip(NEXT) | instid1(VALU_DEP_1)
	v_add_nc_u32_e32 v28, 1, v29
	v_cndmask_b32_e32 v23, 33, v28, vcc_lo
	s_delay_alu instid0(VALU_DEP_1) | instskip(NEXT) | instid1(VALU_DEP_1)
	v_sub_nc_u32_e32 v24, 32, v23
	v_alignbit_b32 v26, v27, v22, v24
	v_alignbit_b32 v21, v22, v21, v24
	v_lshrrev_b32_e32 v22, 29, v2
	s_delay_alu instid0(VALU_DEP_2) | instskip(NEXT) | instid1(VALU_DEP_2)
	v_alignbit_b32 v24, v26, v21, 9
	v_lshlrev_b32_e32 v22, 31, v22
	v_alignbit_b32 v26, v23, v26, 9
	s_delay_alu instid0(VALU_DEP_3) | instskip(NEXT) | instid1(VALU_DEP_2)
	v_clz_i32_u32_e32 v27, v24
	v_or_b32_e32 v26, v26, v22
	v_or_b32_e32 v22, 0x33800000, v22
	s_delay_alu instid0(VALU_DEP_3) | instskip(NEXT) | instid1(VALU_DEP_3)
	v_min_u32_e32 v27, 32, v27
	v_xor_b32_e32 v26, 1.0, v26
	s_delay_alu instid0(VALU_DEP_2) | instskip(SKIP_1) | instid1(VALU_DEP_3)
	v_sub_nc_u32_e32 v28, 31, v27
	v_add_lshl_u32 v23, v27, v23, 23
	v_mul_f32_e32 v27, 0x3fc90fda, v26
	s_delay_alu instid0(VALU_DEP_3) | instskip(NEXT) | instid1(VALU_DEP_3)
	v_alignbit_b32 v21, v24, v21, v28
	v_sub_nc_u32_e32 v22, v22, v23
	s_delay_alu instid0(VALU_DEP_3) | instskip(NEXT) | instid1(VALU_DEP_3)
	v_fma_f32 v23, 0x3fc90fda, v26, -v27
                                        ; implicit-def: $vgpr24
	v_lshrrev_b32_e32 v21, 9, v21
	s_delay_alu instid0(VALU_DEP_2) | instskip(NEXT) | instid1(VALU_DEP_2)
	v_fmac_f32_e32 v23, 0x33a22168, v26
	v_or_b32_e32 v21, v22, v21
	s_delay_alu instid0(VALU_DEP_1) | instskip(SKIP_1) | instid1(VALU_DEP_1)
	v_fmac_f32_e32 v23, 0x3fc90fda, v21
	v_lshrrev_b32_e32 v21, 30, v2
	v_dual_add_f32 v2, v27, v23 :: v_dual_add_nc_u32 v23, v25, v21
	s_and_not1_saveexec_b32 s3, s28
	s_cbranch_execz .LBB6_1
	s_branch .LBB6_25
.LBB6_24:                               ;   in Loop: Header=BB6_2 Depth=1
	s_and_not1_saveexec_b32 s3, s28
	s_cbranch_execz .LBB6_1
.LBB6_25:                               ;   in Loop: Header=BB6_2 Depth=1
	v_fma_f32 v2, 0xbfc90fda, v24, |v16|
	v_cvt_i32_f32_e32 v23, v24
	s_delay_alu instid0(VALU_DEP_2) | instskip(NEXT) | instid1(VALU_DEP_1)
	v_fmac_f32_e32 v2, 0xb3a22168, v24
	v_fmac_f32_e32 v2, 0xa7c234c4, v24
	s_branch .LBB6_1
.LBB6_26:
	s_clause 0x1
	s_load_b64 s[4:5], s[0:1], 0x0
	s_load_b128 s[12:15], s[0:1], 0x48
	scratch_load_b128 v[0:3], off, off offset:272
	s_movk_i32 s0, 0x1004
	v_mov_b32_e32 v63, 0
	s_mov_b32 s17, 0
	s_delay_alu instid0(SALU_CYCLE_1)
	s_mov_b32 s16, s17
	s_waitcnt lgkmcnt(0)
	s_max_i32 s20, s5, 1
	s_max_i32 s21, s4, 1
	s_add_u32 s8, s8, 8
	s_addc_u32 s9, s9, 0
	s_waitcnt vmcnt(0)
	scratch_store_b128 off, v[0:3], off offset:3684 ; 16-byte Folded Spill
	scratch_load_b128 v[0:3], off, off offset:288
	s_waitcnt vmcnt(0)
	scratch_store_b128 off, v[0:3], off offset:3700 ; 16-byte Folded Spill
	scratch_load_b128 v[0:3], off, off offset:304
	;; [unrolled: 3-line block ×26, first 2 shown]
	s_waitcnt vmcnt(0)
	scratch_store_b128 off, v[0:3], s0      ; 16-byte Folded Spill
	scratch_load_b128 v[0:3], off, off offset:704
	s_movk_i32 s0, 0x1014
	s_waitcnt vmcnt(0)
	scratch_store_b128 off, v[0:3], s0      ; 16-byte Folded Spill
	scratch_load_b128 v[0:3], off, off offset:720
	s_movk_i32 s0, 0x1024
	;; [unrolled: 4-line block ×48, first 2 shown]
	s_waitcnt vmcnt(0)
	scratch_store_b128 off, v[0:3], s0      ; 16-byte Folded Spill
.LBB6_27:                               ; =>This Loop Header: Depth=1
                                        ;     Child Loop BB6_28 Depth 2
	s_lshl_b64 s[0:1], s[16:17], 4
	s_mov_b32 s22, s20
	s_add_u32 s0, s10, s0
	s_addc_u32 s1, s11, s1
	s_mov_b64 s[18:19], s[8:9]
	global_load_b128 v[108:111], v63, s[0:1]
	s_clause 0x1
	scratch_load_b128 v[0:3], off, off offset:1472
	scratch_load_b128 v[4:7], off, off offset:1488
	s_movk_i32 s0, 0x1004
	s_waitcnt vmcnt(2)
	v_ashrrev_i32_e32 v62, 31, v111
	s_waitcnt vmcnt(1)
	v_fma_f32 v0, v108, v0, v3
	s_delay_alu instid0(VALU_DEP_1) | instskip(NEXT) | instid1(VALU_DEP_1)
	v_dual_mov_b32 v61, v111 :: v_dual_fmac_f32 v0, v109, v1
	v_lshlrev_b64 v[61:62], 4, v[61:62]
	s_delay_alu instid0(VALU_DEP_2) | instskip(NEXT) | instid1(VALU_DEP_2)
	v_fmac_f32_e32 v0, v110, v2
	v_add_co_u32 v61, vcc_lo, s14, v61
	s_delay_alu instid0(VALU_DEP_3) | instskip(SKIP_3) | instid1(VALU_DEP_1)
	v_add_co_ci_u32_e32 v62, vcc_lo, s15, v62, vcc_lo
	scratch_store_b32 off, v0, off offset:3344 ; 4-byte Folded Spill
	s_waitcnt vmcnt(0)
	v_fma_f32 v0, v108, v4, v7
	v_fmac_f32_e32 v0, v109, v5
	s_delay_alu instid0(VALU_DEP_1)
	v_fmac_f32_e32 v0, v110, v6
	scratch_store_b32 off, v0, off offset:3348 ; 4-byte Folded Spill
	s_clause 0x1
	scratch_load_b128 v[0:3], off, off offset:1504
	scratch_load_b128 v[4:7], off, off offset:1520
	s_waitcnt vmcnt(1)
	v_fma_f32 v0, v108, v0, v3
	s_delay_alu instid0(VALU_DEP_1) | instskip(NEXT) | instid1(VALU_DEP_1)
	v_fmac_f32_e32 v0, v109, v1
	v_fmac_f32_e32 v0, v110, v2
	scratch_store_b32 off, v0, off offset:3352 ; 4-byte Folded Spill
	s_waitcnt vmcnt(0)
	v_fma_f32 v0, v108, v4, v7
	s_delay_alu instid0(VALU_DEP_1) | instskip(NEXT) | instid1(VALU_DEP_1)
	v_fmac_f32_e32 v0, v109, v5
	v_fmac_f32_e32 v0, v110, v6
	scratch_store_b32 off, v0, off offset:3356 ; 4-byte Folded Spill
	s_clause 0x1
	scratch_load_b128 v[0:3], off, off offset:1536
	scratch_load_b128 v[4:7], off, off offset:1552
	s_waitcnt vmcnt(1)
	v_fma_f32 v0, v108, v0, v3
	s_delay_alu instid0(VALU_DEP_1) | instskip(NEXT) | instid1(VALU_DEP_1)
	v_fmac_f32_e32 v0, v109, v1
	v_fmac_f32_e32 v0, v110, v2
	scratch_store_b32 off, v0, off offset:3360 ; 4-byte Folded Spill
	s_waitcnt vmcnt(0)
	v_fma_f32 v0, v108, v4, v7
	s_delay_alu instid0(VALU_DEP_1) | instskip(NEXT) | instid1(VALU_DEP_1)
	v_fmac_f32_e32 v0, v109, v5
	;; [unrolled: 15-line block ×40, first 2 shown]
	v_fmac_f32_e32 v0, v110, v6
	scratch_store_b32 off, v0, off offset:3668 ; 4-byte Folded Spill
	s_clause 0x1
	scratch_load_b128 v[0:3], off, off offset:2784
	scratch_load_b128 v[4:7], off, off offset:2800
	s_waitcnt vmcnt(1)
	v_fma_f32 v0, v108, v0, v3
	s_waitcnt vmcnt(0)
	v_fma_f32 v72, v108, v4, v7
	s_delay_alu instid0(VALU_DEP_2) | instskip(NEXT) | instid1(VALU_DEP_2)
	v_fmac_f32_e32 v0, v109, v1
	v_fmac_f32_e32 v72, v109, v5
	s_delay_alu instid0(VALU_DEP_2) | instskip(NEXT) | instid1(VALU_DEP_2)
	v_fmac_f32_e32 v0, v110, v2
	v_fmac_f32_e32 v72, v110, v6
	scratch_store_b32 off, v0, off offset:3672 ; 4-byte Folded Spill
	s_clause 0x1
	scratch_load_b128 v[0:3], off, off offset:2816
	scratch_load_b128 v[4:7], off, off offset:2832
	s_waitcnt vmcnt(1)
	v_fma_f32 v73, v108, v0, v3
	s_waitcnt vmcnt(0)
	v_fma_f32 v74, v108, v4, v7
	s_delay_alu instid0(VALU_DEP_2) | instskip(NEXT) | instid1(VALU_DEP_1)
	v_fmac_f32_e32 v73, v109, v1
	v_dual_fmac_f32 v74, v109, v5 :: v_dual_fmac_f32 v73, v110, v2
	s_delay_alu instid0(VALU_DEP_1)
	v_fmac_f32_e32 v74, v110, v6
	s_clause 0x1
	scratch_load_b128 v[0:3], off, off offset:2848
	scratch_load_b128 v[4:7], off, off offset:2864
	s_waitcnt vmcnt(1)
	v_fma_f32 v75, v108, v0, v3
	s_waitcnt vmcnt(0)
	v_fma_f32 v76, v108, v4, v7
	s_delay_alu instid0(VALU_DEP_2) | instskip(NEXT) | instid1(VALU_DEP_1)
	v_fmac_f32_e32 v75, v109, v1
	v_dual_fmac_f32 v76, v109, v5 :: v_dual_fmac_f32 v75, v110, v2
	s_delay_alu instid0(VALU_DEP_1)
	v_fmac_f32_e32 v76, v110, v6
	;; [unrolled: 12-line block ×15, first 2 shown]
	s_clause 0x1
	scratch_load_b128 v[0:3], off, off offset:3296
	scratch_load_b128 v[4:7], off, off offset:3312
	global_load_b128 v[132:135], v[61:62], off
	s_waitcnt vmcnt(2)
	v_fma_f32 v103, v108, v0, v3
	s_waitcnt vmcnt(1)
	v_fma_f32 v104, v108, v4, v7
	s_waitcnt vmcnt(0)
	v_cmp_gt_f32_e64 s3, 0, v134
	v_cmp_eq_u32_e64 s1, 0x46, v132
	v_cmp_eq_u32_e64 s4, 0x45, v132
	v_fmac_f32_e32 v103, v109, v1
	v_fmac_f32_e32 v104, v109, v5
	v_cndmask_b32_e64 v61, 1.0, 0x40b00000, s3
	s_delay_alu instid0(VALU_DEP_3)
	v_fmac_f32_e32 v103, v110, v2
	scratch_load_b128 v[0:3], off, off offset:3328
	v_fmac_f32_e32 v104, v110, v6
	scratch_store_b32 off, v61, off offset:3676 ; 4-byte Folded Spill
	v_cndmask_b32_e64 v61, 0xff7fffff, 1.0, s3
	scratch_store_b32 off, v61, off offset:3680 ; 4-byte Folded Spill
	s_waitcnt vmcnt(0)
	v_fma_f32 v105, v108, v0, v3
	s_delay_alu instid0(VALU_DEP_1) | instskip(NEXT) | instid1(VALU_DEP_1)
	v_fmac_f32_e32 v105, v109, v1
	v_fmac_f32_e32 v105, v110, v2
	scratch_load_b128 v[0:3], off, off offset:3684 ; 16-byte Folded Reload
	s_waitcnt vmcnt(0)
	v_fma_f32 v106, v108, v0, v3
	scratch_load_b128 v[3:6], off, off offset:3700 ; 16-byte Folded Reload
	v_fmac_f32_e32 v106, v109, v1
	s_delay_alu instid0(VALU_DEP_1)
	v_fmac_f32_e32 v106, v110, v2
	s_waitcnt vmcnt(0)
	v_fma_f32 v107, v108, v3, v6
	s_clause 0x1
	scratch_load_b128 v[6:9], off, off offset:3716
	scratch_load_b128 v[0:3], off, off offset:3764
	v_fmac_f32_e32 v107, v109, v4
	s_delay_alu instid0(VALU_DEP_1)
	v_fmac_f32_e32 v107, v110, v5
	s_waitcnt vmcnt(1)
	v_fma_f32 v180, v108, v6, v9
	scratch_load_b128 v[9:12], off, off offset:3732 ; 16-byte Folded Reload
	s_waitcnt vmcnt(1)
	v_fma_f32 v183, v108, v0, v3
	scratch_load_b128 v[3:6], off, off offset:3780 ; 16-byte Folded Reload
	v_fmac_f32_e32 v180, v109, v7
	s_delay_alu instid0(VALU_DEP_1) | instskip(NEXT) | instid1(VALU_DEP_1)
	v_dual_fmac_f32 v183, v109, v1 :: v_dual_fmac_f32 v180, v110, v8
	v_fmac_f32_e32 v183, v110, v2
	s_waitcnt vmcnt(1)
	v_fma_f32 v181, v108, v9, v12
	scratch_load_b128 v[12:15], off, off offset:3748 ; 16-byte Folded Reload
	s_waitcnt vmcnt(1)
	v_fma_f32 v184, v108, v3, v6
	s_clause 0x1
	scratch_load_b128 v[6:9], off, off offset:3796
	scratch_load_b128 v[0:3], off, off offset:3844
	v_fmac_f32_e32 v181, v109, v10
	s_delay_alu instid0(VALU_DEP_1) | instskip(NEXT) | instid1(VALU_DEP_1)
	v_dual_fmac_f32 v184, v109, v4 :: v_dual_fmac_f32 v181, v110, v11
	v_fmac_f32_e32 v184, v110, v5
	s_waitcnt vmcnt(2)
	v_fma_f32 v182, v108, v12, v15
	s_waitcnt vmcnt(1)
	v_fma_f32 v185, v108, v6, v9
	scratch_load_b128 v[9:12], off, off offset:3812 ; 16-byte Folded Reload
	s_waitcnt vmcnt(1)
	v_fma_f32 v188, v108, v0, v3
	v_fmac_f32_e32 v182, v109, v13
	scratch_load_b128 v[3:6], off, off offset:3860 ; 16-byte Folded Reload
	v_fmac_f32_e32 v185, v109, v7
	v_fmac_f32_e32 v188, v109, v1
	;; [unrolled: 1-line block ×3, first 2 shown]
	s_delay_alu instid0(VALU_DEP_3) | instskip(NEXT) | instid1(VALU_DEP_3)
	v_fmac_f32_e32 v185, v110, v8
	v_fmac_f32_e32 v188, v110, v2
	s_waitcnt vmcnt(1)
	v_fma_f32 v186, v108, v9, v12
	scratch_load_b128 v[12:15], off, off offset:3828 ; 16-byte Folded Reload
	s_waitcnt vmcnt(1)
	v_fma_f32 v189, v108, v3, v6
	scratch_load_b128 v[6:9], off, off offset:3876 ; 16-byte Folded Reload
	v_fmac_f32_e32 v186, v109, v10
	s_delay_alu instid0(VALU_DEP_1) | instskip(NEXT) | instid1(VALU_DEP_1)
	v_dual_fmac_f32 v189, v109, v4 :: v_dual_fmac_f32 v186, v110, v11
	v_fmac_f32_e32 v189, v110, v5
	s_waitcnt vmcnt(1)
	v_fma_f32 v187, v108, v12, v15
	s_waitcnt vmcnt(0)
	v_fma_f32 v190, v108, v6, v9
	scratch_load_b128 v[9:12], off, off offset:3892 ; 16-byte Folded Reload
	v_fmac_f32_e32 v187, v109, v13
	v_fmac_f32_e32 v190, v109, v7
	scratch_load_b128 v[4:7], off, off offset:3924 ; 16-byte Folded Reload
	v_fmac_f32_e32 v187, v110, v14
	v_fmac_f32_e32 v190, v110, v8
	s_waitcnt vmcnt(1)
	v_fma_f32 v191, v108, v9, v12
	scratch_load_b128 v[12:15], off, off offset:3908 ; 16-byte Folded Reload
	v_fmac_f32_e32 v191, v109, v10
	s_waitcnt vmcnt(1)
	v_fma_f32 v1, v108, v4, v7
	scratch_load_b128 v[7:10], off, off offset:3940 ; 16-byte Folded Reload
	v_fmac_f32_e32 v191, v110, v11
	v_fmac_f32_e32 v1, v109, v5
	s_delay_alu instid0(VALU_DEP_1) | instskip(SKIP_2) | instid1(VALU_DEP_1)
	v_fmac_f32_e32 v1, v110, v6
	s_waitcnt vmcnt(1)
	v_fma_f32 v0, v108, v12, v15
	v_fmac_f32_e32 v0, v109, v13
	s_waitcnt vmcnt(0)
	v_fma_f32 v2, v108, v7, v10
	scratch_load_b128 v[10:13], off, off offset:3956 ; 16-byte Folded Reload
	v_fmac_f32_e32 v0, v110, v14
	v_fmac_f32_e32 v2, v109, v8
	s_delay_alu instid0(VALU_DEP_1) | instskip(SKIP_4) | instid1(VALU_DEP_1)
	v_fmac_f32_e32 v2, v110, v9
	s_waitcnt vmcnt(0)
	v_fma_f32 v3, v108, v10, v13
	scratch_load_b128 v[13:16], off, off offset:3972 ; 16-byte Folded Reload
	v_fmac_f32_e32 v3, v109, v11
	v_fmac_f32_e32 v3, v110, v12
	scratch_load_b128 v[9:12], off, off offset:4004 ; 16-byte Folded Reload
	s_waitcnt vmcnt(1)
	v_fma_f32 v4, v108, v13, v16
	scratch_load_b128 v[16:19], off, off offset:3988 ; 16-byte Folded Reload
	v_fmac_f32_e32 v4, v109, v14
	s_delay_alu instid0(VALU_DEP_1) | instskip(SKIP_4) | instid1(VALU_DEP_1)
	v_fmac_f32_e32 v4, v110, v15
	s_waitcnt vmcnt(1)
	v_fma_f32 v6, v108, v9, v12
	scratch_load_b128 v[12:15], off, off offset:4020 ; 16-byte Folded Reload
	v_fmac_f32_e32 v6, v109, v10
	v_fmac_f32_e32 v6, v110, v11
	s_waitcnt vmcnt(1)
	v_fma_f32 v5, v108, v16, v19
	s_delay_alu instid0(VALU_DEP_1) | instskip(NEXT) | instid1(VALU_DEP_1)
	v_fmac_f32_e32 v5, v109, v17
	v_fmac_f32_e32 v5, v110, v18
	s_waitcnt vmcnt(0)
	v_fma_f32 v7, v108, v12, v15
	scratch_load_b128 v[15:18], off, off offset:4036 ; 16-byte Folded Reload
	v_fmac_f32_e32 v7, v109, v13
	s_delay_alu instid0(VALU_DEP_1) | instskip(SKIP_4) | instid1(VALU_DEP_1)
	v_fmac_f32_e32 v7, v110, v14
	s_waitcnt vmcnt(0)
	v_fma_f32 v8, v108, v15, v18
	scratch_load_b128 v[18:21], off, off offset:4052 ; 16-byte Folded Reload
	v_fmac_f32_e32 v8, v109, v16
	v_fmac_f32_e32 v8, v110, v17
	scratch_load_b128 v[14:17], off, off offset:4084 ; 16-byte Folded Reload
	s_waitcnt vmcnt(1)
	v_fma_f32 v9, v108, v18, v21
	scratch_load_b128 v[21:24], off, off offset:4068 ; 16-byte Folded Reload
	v_fmac_f32_e32 v9, v109, v19
	s_delay_alu instid0(VALU_DEP_1)
	v_fmac_f32_e32 v9, v110, v20
	s_waitcnt vmcnt(1)
	v_fma_f32 v11, v108, v14, v17
	scratch_load_b128 v[17:20], off, s0     ; 16-byte Folded Reload
	s_movk_i32 s0, 0x1014
	v_fmac_f32_e32 v11, v109, v15
	s_delay_alu instid0(VALU_DEP_1) | instskip(SKIP_2) | instid1(VALU_DEP_1)
	v_fmac_f32_e32 v11, v110, v16
	s_waitcnt vmcnt(1)
	v_fma_f32 v10, v108, v21, v24
	v_fmac_f32_e32 v10, v109, v22
	s_delay_alu instid0(VALU_DEP_1)
	v_fmac_f32_e32 v10, v110, v23
	s_waitcnt vmcnt(0)
	v_fma_f32 v12, v108, v17, v20
	scratch_load_b128 v[20:23], off, s0     ; 16-byte Folded Reload
	s_movk_i32 s0, 0x1024
	v_fmac_f32_e32 v12, v109, v18
	s_delay_alu instid0(VALU_DEP_1)
	v_fmac_f32_e32 v12, v110, v19
	s_waitcnt vmcnt(0)
	v_fma_f32 v13, v108, v20, v23
	scratch_load_b128 v[23:26], off, s0     ; 16-byte Folded Reload
	s_movk_i32 s0, 0x1034
	;; [unrolled: 7-line block ×3, first 2 shown]
	scratch_load_b128 v[19:22], off, s0     ; 16-byte Folded Reload
	s_movk_i32 s0, 0x1054
	v_fmac_f32_e32 v14, v109, v24
	s_delay_alu instid0(VALU_DEP_1)
	v_fmac_f32_e32 v14, v110, v25
	s_waitcnt vmcnt(1)
	v_fma_f32 v15, v108, v26, v29
	s_waitcnt vmcnt(0)
	v_fma_f32 v16, v108, v19, v22
	scratch_load_b128 v[22:25], off, s0     ; 16-byte Folded Reload
	s_movk_i32 s0, 0x1064
	v_fmac_f32_e32 v15, v109, v27
	v_fmac_f32_e32 v16, v109, v20
	s_delay_alu instid0(VALU_DEP_2) | instskip(NEXT) | instid1(VALU_DEP_2)
	v_fmac_f32_e32 v15, v110, v28
	v_fmac_f32_e32 v16, v110, v21
	s_waitcnt vmcnt(0)
	v_fma_f32 v17, v108, v22, v25
	scratch_load_b128 v[25:28], off, s0     ; 16-byte Folded Reload
	s_movk_i32 s0, 0x1074
	v_fmac_f32_e32 v17, v109, v23
	s_delay_alu instid0(VALU_DEP_1)
	v_fmac_f32_e32 v17, v110, v24
	s_waitcnt vmcnt(0)
	v_fma_f32 v18, v108, v25, v28
	scratch_load_b128 v[28:31], off, s0     ; 16-byte Folded Reload
	s_movk_i32 s0, 0x1084
	v_fmac_f32_e32 v18, v109, v26
	s_delay_alu instid0(VALU_DEP_1)
	v_fmac_f32_e32 v18, v110, v27
	s_waitcnt vmcnt(0)
	v_fma_f32 v19, v108, v28, v31
	scratch_load_b128 v[31:34], off, s0     ; 16-byte Folded Reload
	s_movk_i32 s0, 0x1094
	scratch_load_b128 v[24:27], off, s0     ; 16-byte Folded Reload
	s_movk_i32 s0, 0x10a4
	v_fmac_f32_e32 v19, v109, v29
	s_delay_alu instid0(VALU_DEP_1)
	v_fmac_f32_e32 v19, v110, v30
	s_waitcnt vmcnt(1)
	v_fma_f32 v20, v108, v31, v34
	s_waitcnt vmcnt(0)
	v_fma_f32 v21, v108, v24, v27
	scratch_load_b128 v[27:30], off, s0     ; 16-byte Folded Reload
	s_movk_i32 s0, 0x10b4
	v_fmac_f32_e32 v20, v109, v32
	v_fmac_f32_e32 v21, v109, v25
	s_delay_alu instid0(VALU_DEP_2) | instskip(NEXT) | instid1(VALU_DEP_2)
	v_fmac_f32_e32 v20, v110, v33
	v_fmac_f32_e32 v21, v110, v26
	s_waitcnt vmcnt(0)
	v_fma_f32 v22, v108, v27, v30
	scratch_load_b128 v[30:33], off, s0     ; 16-byte Folded Reload
	s_movk_i32 s0, 0x10c4
	v_fmac_f32_e32 v22, v109, v28
	s_delay_alu instid0(VALU_DEP_1)
	v_fmac_f32_e32 v22, v110, v29
	s_waitcnt vmcnt(0)
	v_fma_f32 v23, v108, v30, v33
	scratch_load_b128 v[33:36], off, s0     ; 16-byte Folded Reload
	s_movk_i32 s0, 0x10d4
	v_fmac_f32_e32 v23, v109, v31
	s_delay_alu instid0(VALU_DEP_1)
	v_fmac_f32_e32 v23, v110, v32
	s_waitcnt vmcnt(0)
	v_fma_f32 v24, v108, v33, v36
	scratch_load_b128 v[36:39], off, s0     ; 16-byte Folded Reload
	s_movk_i32 s0, 0x10e4
	;; [unrolled: 34-line block ×6, first 2 shown]
	scratch_load_b128 v[49:52], off, s0     ; 16-byte Folded Reload
	s_movk_i32 s0, 0x1234
	v_fmac_f32_e32 v44, v109, v54
	s_delay_alu instid0(VALU_DEP_1)
	v_fmac_f32_e32 v44, v110, v55
	s_waitcnt vmcnt(1)
	v_fma_f32 v45, v108, v56, v59
	s_waitcnt vmcnt(0)
	v_fma_f32 v46, v108, v49, v52
	scratch_load_b128 v[52:55], off, s0     ; 16-byte Folded Reload
	s_movk_i32 s0, 0x1244
	v_fmac_f32_e32 v45, v109, v57
	v_fmac_f32_e32 v46, v109, v50
	s_delay_alu instid0(VALU_DEP_2) | instskip(NEXT) | instid1(VALU_DEP_2)
	v_fmac_f32_e32 v45, v110, v58
	v_fmac_f32_e32 v46, v110, v51
	s_waitcnt vmcnt(0)
	v_fma_f32 v47, v108, v52, v55
	scratch_load_b128 v[55:58], off, s0     ; 16-byte Folded Reload
	s_movk_i32 s0, 0x1254
	scratch_load_b128 v[64:67], off, s0     ; 16-byte Folded Reload
	s_movk_i32 s0, 0x1264
	v_fmac_f32_e32 v47, v109, v53
	s_delay_alu instid0(VALU_DEP_1)
	v_fmac_f32_e32 v47, v110, v54
	s_waitcnt vmcnt(1)
	v_fma_f32 v48, v108, v55, v58
	s_waitcnt vmcnt(0)
	v_fma_f32 v49, v108, v64, v67
	scratch_load_b128 v[67:70], off, s0     ; 16-byte Folded Reload
	s_movk_i32 s0, 0x1274
	v_fmac_f32_e32 v48, v109, v56
	v_fmac_f32_e32 v49, v109, v65
	s_delay_alu instid0(VALU_DEP_2)
	v_fmac_f32_e32 v48, v110, v57
	scratch_load_b128 v[54:57], off, s0     ; 16-byte Folded Reload
	s_movk_i32 s0, 0x1284
	v_fmac_f32_e32 v49, v110, v66
	s_waitcnt vmcnt(1)
	v_fma_f32 v50, v108, v67, v70
	s_delay_alu instid0(VALU_DEP_1)
	v_fmac_f32_e32 v50, v109, v68
	s_waitcnt vmcnt(0)
	v_fma_f32 v51, v108, v54, v57
	scratch_load_b128 v[57:60], off, s0     ; 16-byte Folded Reload
	s_movk_i32 s0, 0x1294
	v_fmac_f32_e32 v50, v110, v69
	scratch_load_b128 v[64:67], off, s0     ; 16-byte Folded Reload
	s_movk_i32 s0, 0x12a4
	v_fmac_f32_e32 v51, v109, v55
	s_delay_alu instid0(VALU_DEP_1)
	v_fmac_f32_e32 v51, v110, v56
	s_waitcnt vmcnt(1)
	v_fma_f32 v52, v108, v57, v60
	s_waitcnt vmcnt(0)
	v_fma_f32 v53, v108, v64, v67
	scratch_load_b128 v[67:70], off, s0     ; 16-byte Folded Reload
	s_movk_i32 s0, 0x12b4
	v_fmac_f32_e32 v52, v109, v58
	scratch_load_b128 v[111:114], off, s0   ; 16-byte Folded Reload
	s_movk_i32 s0, 0x12c4
	v_dual_fmac_f32 v53, v109, v65 :: v_dual_fmac_f32 v52, v110, v59
	s_delay_alu instid0(VALU_DEP_1)
	v_fmac_f32_e32 v53, v110, v66
	s_waitcnt vmcnt(1)
	v_fma_f32 v54, v108, v67, v70
	scratch_load_b128 v[64:67], off, s0     ; 16-byte Folded Reload
	s_movk_i32 s0, 0x12d4
	s_waitcnt vmcnt(1)
	v_fma_f32 v55, v108, v111, v114
	v_fmac_f32_e32 v54, v109, v68
	s_delay_alu instid0(VALU_DEP_1) | instskip(NEXT) | instid1(VALU_DEP_1)
	v_dual_fmac_f32 v55, v109, v112 :: v_dual_fmac_f32 v54, v110, v69
	v_fmac_f32_e32 v55, v110, v113
	s_waitcnt vmcnt(0)
	v_fma_f32 v56, v108, v64, v67
	scratch_load_b128 v[67:70], off, s0     ; 16-byte Folded Reload
	s_movk_i32 s0, 0x12e4
	scratch_load_b128 v[111:114], off, s0   ; 16-byte Folded Reload
	s_movk_i32 s0, 0x12f4
	v_fmac_f32_e32 v56, v109, v65
	s_delay_alu instid0(VALU_DEP_1)
	v_fmac_f32_e32 v56, v110, v66
	s_waitcnt vmcnt(1)
	v_fma_f32 v57, v108, v67, v70
	s_waitcnt vmcnt(0)
	v_fma_f32 v58, v108, v111, v114
	scratch_load_b128 v[114:117], off, s0   ; 16-byte Folded Reload
	s_movk_i32 s0, 0x1304
	v_fmac_f32_e32 v57, v109, v68
	s_delay_alu instid0(VALU_DEP_1) | instskip(NEXT) | instid1(VALU_DEP_1)
	v_dual_fmac_f32 v58, v109, v112 :: v_dual_fmac_f32 v57, v110, v69
	v_fmac_f32_e32 v58, v110, v113
	s_waitcnt vmcnt(0)
	v_fma_f32 v59, v108, v114, v117
	scratch_load_b128 v[117:120], off, s0   ; 16-byte Folded Reload
	v_cmp_lt_f32_e64 s0, 0, v134
	v_fmac_f32_e32 v59, v109, v115
	s_delay_alu instid0(VALU_DEP_1) | instskip(SKIP_2) | instid1(VALU_DEP_1)
	v_fmac_f32_e32 v59, v110, v116
	s_waitcnt vmcnt(0)
	v_fma_f32 v60, v108, v117, v120
	v_fmac_f32_e32 v60, v109, v118
	s_delay_alu instid0(VALU_DEP_1)
	v_fmac_f32_e32 v60, v110, v119
	s_clause 0xf
	scratch_load_b128 v[128:131], off, off offset:16
	scratch_load_b128 v[124:127], off, off offset:32
	;; [unrolled: 1-line block ×16, first 2 shown]
.LBB6_28:                               ;   Parent Loop BB6_27 Depth=1
                                        ; =>  This Inner Loop Header: Depth=2
	global_load_b128 v[176:179], v63, s[18:19] offset:-8
	s_waitcnt vmcnt(0)
	v_ashrrev_i32_e32 v62, 31, v179
	v_mov_b32_e32 v61, v179
	s_delay_alu instid0(VALU_DEP_1) | instskip(NEXT) | instid1(VALU_DEP_1)
	v_lshlrev_b64 v[61:62], 4, v[61:62]
	v_add_co_u32 v61, vcc_lo, s14, v61
	s_delay_alu instid0(VALU_DEP_2) | instskip(SKIP_4) | instid1(VALU_DEP_2)
	v_add_co_ci_u32_e32 v62, vcc_lo, s15, v62, vcc_lo
	global_load_b128 v[66:69], v[61:62], off
	s_waitcnt vmcnt(0)
	v_add_f32_e32 v61, v133, v67
	v_cmp_lt_f32_e64 s6, 0, v68
	v_div_scale_f32 v62, null, v61, v61, 1.0
	s_delay_alu instid0(VALU_DEP_2) | instskip(NEXT) | instid1(VALU_DEP_1)
	s_and_b32 s6, s6, s3
	v_rcp_f32_e32 v63, v62
	s_waitcnt_depctr 0xfff
	v_fma_f32 v64, -v62, v63, 1.0
	s_delay_alu instid0(VALU_DEP_1) | instskip(SKIP_1) | instid1(VALU_DEP_1)
	v_fmac_f32_e32 v63, v64, v63
	v_div_scale_f32 v64, vcc_lo, 1.0, v61, 1.0
	v_mul_f32_e32 v65, v64, v63
	s_delay_alu instid0(VALU_DEP_1) | instskip(NEXT) | instid1(VALU_DEP_1)
	v_fma_f32 v67, -v62, v65, v64
	v_fmac_f32_e32 v65, v67, v63
	s_delay_alu instid0(VALU_DEP_1) | instskip(NEXT) | instid1(VALU_DEP_1)
	v_fma_f32 v62, -v62, v65, v64
	v_div_fmas_f32 v62, v62, v63, v65
	v_cmp_eq_u32_e32 vcc_lo, 0x46, v66
	s_and_b32 s5, vcc_lo, s1
	v_cmp_eq_u32_e32 vcc_lo, 0x45, v66
	s_clause 0x1
	scratch_load_b32 v65, off, off offset:3676
	scratch_load_b32 v66, off, off offset:3680
	v_cndmask_b32_e64 v63, 0.5, 0x3e800000, s5
	s_or_b32 s23, vcc_lo, s4
	v_cmp_gt_f32_e32 vcc_lo, 0, v68
	s_and_b32 s24, vcc_lo, s0
	s_delay_alu instid0(SALU_CYCLE_1) | instskip(SKIP_2) | instid1(VALU_DEP_1)
	v_cndmask_b32_e64 v67, v68, -v68, s24
	s_waitcnt vmcnt(0)
	v_cndmask_b32_e32 v179, v66, v65, vcc_lo
	v_div_scale_f32 v65, null, v179, v179, 1.0
	s_delay_alu instid0(VALU_DEP_1) | instskip(SKIP_2) | instid1(VALU_DEP_1)
	v_rcp_f32_e32 v66, v65
	s_waitcnt_depctr 0xfff
	v_fma_f32 v132, -v65, v66, 1.0
	v_fmac_f32_e32 v66, v132, v66
	v_div_scale_f32 v132, vcc_lo, 1.0, v179, 1.0
	s_delay_alu instid0(VALU_DEP_1)
	v_mul_f32_e32 v70, v132, v66
	v_div_fixup_f32 v64, v62, v61, 1.0
	v_cndmask_b32_e64 v62, 2.0, 4.0, s5
	v_cmp_neq_f32_e64 s5, 0, v68
	v_cndmask_b32_e64 v68, v134, -v134, s6
	v_fma_f32 v71, -v65, v70, v132
	s_delay_alu instid0(VALU_DEP_1) | instskip(NEXT) | instid1(VALU_DEP_1)
	v_fmac_f32_e32 v70, v71, v66
	v_fma_f32 v65, -v65, v70, v132
	s_delay_alu instid0(VALU_DEP_4) | instskip(SKIP_1) | instid1(VALU_DEP_3)
	v_add_f32_e32 v132, v67, v68
	v_dual_sub_f32 v67, v106, v176 :: v_dual_sub_f32 v68, v107, v177
	v_div_fmas_f32 v65, v65, v66, v70
	v_mul_f32_e32 v66, v135, v69
	s_delay_alu instid0(VALU_DEP_3) | instskip(SKIP_1) | instid1(VALU_DEP_4)
	v_mul_f32_e32 v68, v68, v68
	v_sub_f32_e32 v69, v180, v178
	v_div_fixup_f32 v65, v65, v179, 1.0
	s_delay_alu instid0(VALU_DEP_3) | instskip(NEXT) | instid1(VALU_DEP_1)
	v_fmac_f32_e32 v68, v67, v67
	v_fmac_f32_e32 v68, v69, v69
	s_delay_alu instid0(VALU_DEP_1) | instskip(SKIP_1) | instid1(VALU_DEP_1)
	v_cmp_gt_f32_e32 vcc_lo, 0xf800000, v68
	v_mul_f32_e32 v67, 0x4f800000, v68
	v_cndmask_b32_e32 v67, v68, v67, vcc_lo
	s_delay_alu instid0(VALU_DEP_1) | instskip(SKIP_2) | instid1(VALU_DEP_1)
	v_sqrt_f32_e32 v68, v67
	s_waitcnt_depctr 0xfff
	v_add_nc_u32_e32 v69, -1, v68
	v_fma_f32 v70, -v69, v68, v67
	s_delay_alu instid0(VALU_DEP_1) | instskip(SKIP_1) | instid1(VALU_DEP_2)
	v_cmp_ge_f32_e64 s6, 0, v70
	v_add_nc_u32_e32 v70, 1, v68
	v_cndmask_b32_e64 v69, v68, v69, s6
	s_delay_alu instid0(VALU_DEP_2) | instskip(NEXT) | instid1(VALU_DEP_1)
	v_fma_f32 v68, -v70, v68, v67
	v_cmp_lt_f32_e64 s6, 0, v68
	s_delay_alu instid0(VALU_DEP_1) | instskip(NEXT) | instid1(VALU_DEP_1)
	v_cndmask_b32_e64 v68, v69, v70, s6
	v_mul_f32_e32 v69, 0x37800000, v68
	s_delay_alu instid0(VALU_DEP_1) | instskip(SKIP_1) | instid1(VALU_DEP_2)
	v_cndmask_b32_e32 v68, v68, v69, vcc_lo
	v_cmp_class_f32_e64 vcc_lo, v67, 0x260
	v_cndmask_b32_e32 v67, v68, v67, vcc_lo
	s_delay_alu instid0(VALU_DEP_1) | instskip(SKIP_1) | instid1(VALU_DEP_2)
	v_sub_f32_e32 v68, v67, v61
	v_fma_f32 v67, -v64, v67, 1.0
	v_cmp_gt_f32_e32 vcc_lo, 0, v68
	v_cmp_lt_f32_e64 s6, v68, v62
	v_cndmask_b32_e64 v69, 0, 0x42980000, vcc_lo
	s_delay_alu instid0(VALU_DEP_1) | instskip(SKIP_1) | instid1(VALU_DEP_4)
	v_fmac_f32_e32 v128, v67, v69
	v_fma_f32 v67, -v63, v68, 1.0
	v_cndmask_b32_e64 v69, 0, 1.0, s6
	v_cmp_lt_f32_e64 s6, v68, v179
	s_delay_alu instid0(VALU_DEP_3) | instskip(NEXT) | instid1(VALU_DEP_2)
	v_cndmask_b32_e64 v67, v67, 1.0, vcc_lo
	s_and_b32 s6, s5, s6
	s_delay_alu instid0(VALU_DEP_1) | instskip(SKIP_1) | instid1(VALU_DEP_2)
	v_mul_f32_e32 v67, v69, v67
	v_sub_f32_e32 v69, v183, v178
	v_mul_f32_e32 v67, v66, v67
	s_delay_alu instid0(VALU_DEP_1) | instskip(NEXT) | instid1(VALU_DEP_1)
	v_cndmask_b32_e64 v67, v67, -|v67|, s23
	v_fmac_f32_e32 v128, 0x42340000, v67
	v_fma_f32 v67, -v65, v68, 1.0
	v_cndmask_b32_e64 v68, 0, 1.0, s6
	s_delay_alu instid0(VALU_DEP_2) | instskip(NEXT) | instid1(VALU_DEP_2)
	v_cndmask_b32_e64 v67, v67, 1.0, vcc_lo
	v_mul_f32_e32 v68, v132, v68
	s_delay_alu instid0(VALU_DEP_1) | instskip(SKIP_1) | instid1(VALU_DEP_1)
	v_fmac_f32_e32 v128, v67, v68
	v_dual_sub_f32 v68, v182, v177 :: v_dual_sub_f32 v67, v181, v176
	v_mul_f32_e32 v68, v68, v68
	s_delay_alu instid0(VALU_DEP_1) | instskip(NEXT) | instid1(VALU_DEP_1)
	v_fmac_f32_e32 v68, v67, v67
	v_fmac_f32_e32 v68, v69, v69
	s_delay_alu instid0(VALU_DEP_1) | instskip(SKIP_1) | instid1(VALU_DEP_1)
	v_cmp_gt_f32_e32 vcc_lo, 0xf800000, v68
	v_mul_f32_e32 v67, 0x4f800000, v68
	v_cndmask_b32_e32 v67, v68, v67, vcc_lo
	s_delay_alu instid0(VALU_DEP_1) | instskip(SKIP_2) | instid1(VALU_DEP_1)
	v_sqrt_f32_e32 v68, v67
	s_waitcnt_depctr 0xfff
	v_add_nc_u32_e32 v69, -1, v68
	v_fma_f32 v70, -v69, v68, v67
	s_delay_alu instid0(VALU_DEP_1) | instskip(SKIP_1) | instid1(VALU_DEP_2)
	v_cmp_ge_f32_e64 s6, 0, v70
	v_add_nc_u32_e32 v70, 1, v68
	v_cndmask_b32_e64 v69, v68, v69, s6
	s_delay_alu instid0(VALU_DEP_2) | instskip(NEXT) | instid1(VALU_DEP_1)
	v_fma_f32 v68, -v70, v68, v67
	v_cmp_lt_f32_e64 s6, 0, v68
	s_delay_alu instid0(VALU_DEP_1) | instskip(NEXT) | instid1(VALU_DEP_1)
	v_cndmask_b32_e64 v68, v69, v70, s6
	v_mul_f32_e32 v69, 0x37800000, v68
	s_delay_alu instid0(VALU_DEP_1) | instskip(SKIP_1) | instid1(VALU_DEP_2)
	v_cndmask_b32_e32 v68, v68, v69, vcc_lo
	v_cmp_class_f32_e64 vcc_lo, v67, 0x260
	v_cndmask_b32_e32 v67, v68, v67, vcc_lo
	s_delay_alu instid0(VALU_DEP_1) | instskip(SKIP_1) | instid1(VALU_DEP_2)
	v_sub_f32_e32 v68, v67, v61
	v_fma_f32 v67, -v64, v67, 1.0
	v_cmp_gt_f32_e32 vcc_lo, 0, v68
	v_cmp_lt_f32_e64 s6, v68, v62
	v_cndmask_b32_e64 v69, 0, 0x42980000, vcc_lo
	s_delay_alu instid0(VALU_DEP_1) | instskip(SKIP_1) | instid1(VALU_DEP_4)
	v_fmac_f32_e32 v129, v67, v69
	v_fma_f32 v67, -v63, v68, 1.0
	v_cndmask_b32_e64 v69, 0, 1.0, s6
	v_cmp_lt_f32_e64 s6, v68, v179
	s_delay_alu instid0(VALU_DEP_3) | instskip(NEXT) | instid1(VALU_DEP_2)
	v_cndmask_b32_e64 v67, v67, 1.0, vcc_lo
	s_and_b32 s6, s5, s6
	s_delay_alu instid0(VALU_DEP_1) | instskip(SKIP_1) | instid1(VALU_DEP_2)
	v_mul_f32_e32 v67, v69, v67
	v_sub_f32_e32 v69, v186, v178
	v_mul_f32_e32 v67, v66, v67
	s_delay_alu instid0(VALU_DEP_1) | instskip(NEXT) | instid1(VALU_DEP_1)
	v_cndmask_b32_e64 v67, v67, -|v67|, s23
	v_fmac_f32_e32 v129, 0x42340000, v67
	v_fma_f32 v67, -v65, v68, 1.0
	v_cndmask_b32_e64 v68, 0, 1.0, s6
	s_delay_alu instid0(VALU_DEP_2) | instskip(NEXT) | instid1(VALU_DEP_2)
	v_cndmask_b32_e64 v67, v67, 1.0, vcc_lo
	v_mul_f32_e32 v68, v132, v68
	s_delay_alu instid0(VALU_DEP_1) | instskip(SKIP_1) | instid1(VALU_DEP_2)
	v_dual_fmac_f32 v129, v67, v68 :: v_dual_sub_f32 v68, v185, v177
	v_sub_f32_e32 v67, v184, v176
	v_mul_f32_e32 v68, v68, v68
	s_delay_alu instid0(VALU_DEP_1) | instskip(NEXT) | instid1(VALU_DEP_1)
	v_fmac_f32_e32 v68, v67, v67
	v_fmac_f32_e32 v68, v69, v69
	s_delay_alu instid0(VALU_DEP_1) | instskip(SKIP_1) | instid1(VALU_DEP_1)
	v_cmp_gt_f32_e32 vcc_lo, 0xf800000, v68
	v_mul_f32_e32 v67, 0x4f800000, v68
	v_cndmask_b32_e32 v67, v68, v67, vcc_lo
	s_delay_alu instid0(VALU_DEP_1) | instskip(SKIP_2) | instid1(VALU_DEP_1)
	v_sqrt_f32_e32 v68, v67
	s_waitcnt_depctr 0xfff
	v_add_nc_u32_e32 v69, -1, v68
	v_fma_f32 v70, -v69, v68, v67
	s_delay_alu instid0(VALU_DEP_1) | instskip(SKIP_1) | instid1(VALU_DEP_2)
	v_cmp_ge_f32_e64 s6, 0, v70
	v_add_nc_u32_e32 v70, 1, v68
	v_cndmask_b32_e64 v69, v68, v69, s6
	s_delay_alu instid0(VALU_DEP_2) | instskip(NEXT) | instid1(VALU_DEP_1)
	v_fma_f32 v68, -v70, v68, v67
	v_cmp_lt_f32_e64 s6, 0, v68
	s_delay_alu instid0(VALU_DEP_1) | instskip(NEXT) | instid1(VALU_DEP_1)
	v_cndmask_b32_e64 v68, v69, v70, s6
	v_mul_f32_e32 v69, 0x37800000, v68
	s_delay_alu instid0(VALU_DEP_1) | instskip(SKIP_1) | instid1(VALU_DEP_2)
	v_cndmask_b32_e32 v68, v68, v69, vcc_lo
	v_cmp_class_f32_e64 vcc_lo, v67, 0x260
	v_cndmask_b32_e32 v67, v68, v67, vcc_lo
	s_delay_alu instid0(VALU_DEP_1) | instskip(SKIP_1) | instid1(VALU_DEP_2)
	v_sub_f32_e32 v68, v67, v61
	v_fma_f32 v67, -v64, v67, 1.0
	v_cmp_gt_f32_e32 vcc_lo, 0, v68
	v_cmp_lt_f32_e64 s6, v68, v62
	v_cndmask_b32_e64 v69, 0, 0x42980000, vcc_lo
	s_delay_alu instid0(VALU_DEP_1) | instskip(SKIP_1) | instid1(VALU_DEP_4)
	v_fmac_f32_e32 v130, v67, v69
	v_fma_f32 v67, -v63, v68, 1.0
	v_cndmask_b32_e64 v69, 0, 1.0, s6
	v_cmp_lt_f32_e64 s6, v68, v179
	s_delay_alu instid0(VALU_DEP_3) | instskip(NEXT) | instid1(VALU_DEP_2)
	v_cndmask_b32_e64 v67, v67, 1.0, vcc_lo
	s_and_b32 s6, s5, s6
	s_delay_alu instid0(VALU_DEP_1) | instskip(SKIP_1) | instid1(VALU_DEP_2)
	v_mul_f32_e32 v67, v69, v67
	v_sub_f32_e32 v69, v189, v178
	v_mul_f32_e32 v67, v66, v67
	s_delay_alu instid0(VALU_DEP_1) | instskip(NEXT) | instid1(VALU_DEP_1)
	v_cndmask_b32_e64 v67, v67, -|v67|, s23
	v_fmac_f32_e32 v130, 0x42340000, v67
	v_fma_f32 v67, -v65, v68, 1.0
	v_cndmask_b32_e64 v68, 0, 1.0, s6
	s_delay_alu instid0(VALU_DEP_2) | instskip(NEXT) | instid1(VALU_DEP_2)
	v_cndmask_b32_e64 v67, v67, 1.0, vcc_lo
	v_mul_f32_e32 v68, v132, v68
	s_delay_alu instid0(VALU_DEP_1) | instskip(SKIP_1) | instid1(VALU_DEP_1)
	v_fmac_f32_e32 v130, v67, v68
	v_dual_sub_f32 v68, v188, v177 :: v_dual_sub_f32 v67, v187, v176
	v_mul_f32_e32 v68, v68, v68
	s_delay_alu instid0(VALU_DEP_1) | instskip(NEXT) | instid1(VALU_DEP_1)
	v_fmac_f32_e32 v68, v67, v67
	v_fmac_f32_e32 v68, v69, v69
	s_delay_alu instid0(VALU_DEP_1) | instskip(SKIP_1) | instid1(VALU_DEP_1)
	v_cmp_gt_f32_e32 vcc_lo, 0xf800000, v68
	v_mul_f32_e32 v67, 0x4f800000, v68
	v_cndmask_b32_e32 v67, v68, v67, vcc_lo
	s_delay_alu instid0(VALU_DEP_1) | instskip(SKIP_2) | instid1(VALU_DEP_1)
	v_sqrt_f32_e32 v68, v67
	s_waitcnt_depctr 0xfff
	v_add_nc_u32_e32 v69, -1, v68
	v_fma_f32 v70, -v69, v68, v67
	s_delay_alu instid0(VALU_DEP_1) | instskip(SKIP_1) | instid1(VALU_DEP_2)
	v_cmp_ge_f32_e64 s6, 0, v70
	v_add_nc_u32_e32 v70, 1, v68
	v_cndmask_b32_e64 v69, v68, v69, s6
	s_delay_alu instid0(VALU_DEP_2) | instskip(NEXT) | instid1(VALU_DEP_1)
	v_fma_f32 v68, -v70, v68, v67
	v_cmp_lt_f32_e64 s6, 0, v68
	s_delay_alu instid0(VALU_DEP_1) | instskip(NEXT) | instid1(VALU_DEP_1)
	v_cndmask_b32_e64 v68, v69, v70, s6
	v_mul_f32_e32 v69, 0x37800000, v68
	s_delay_alu instid0(VALU_DEP_1) | instskip(SKIP_1) | instid1(VALU_DEP_2)
	v_cndmask_b32_e32 v68, v68, v69, vcc_lo
	v_cmp_class_f32_e64 vcc_lo, v67, 0x260
	v_cndmask_b32_e32 v67, v68, v67, vcc_lo
	s_delay_alu instid0(VALU_DEP_1) | instskip(SKIP_1) | instid1(VALU_DEP_2)
	v_sub_f32_e32 v68, v67, v61
	v_fma_f32 v67, -v64, v67, 1.0
	v_cmp_gt_f32_e32 vcc_lo, 0, v68
	v_cmp_lt_f32_e64 s6, v68, v62
	v_cndmask_b32_e64 v69, 0, 0x42980000, vcc_lo
	s_delay_alu instid0(VALU_DEP_1) | instskip(SKIP_1) | instid1(VALU_DEP_4)
	v_fmac_f32_e32 v131, v67, v69
	v_fma_f32 v67, -v63, v68, 1.0
	v_cndmask_b32_e64 v69, 0, 1.0, s6
	v_cmp_lt_f32_e64 s6, v68, v179
	s_delay_alu instid0(VALU_DEP_3) | instskip(NEXT) | instid1(VALU_DEP_2)
	v_cndmask_b32_e64 v67, v67, 1.0, vcc_lo
	s_and_b32 s6, s5, s6
	s_delay_alu instid0(VALU_DEP_1) | instskip(NEXT) | instid1(VALU_DEP_1)
	v_mul_f32_e32 v67, v69, v67
	v_mul_f32_e32 v67, v66, v67
	s_delay_alu instid0(VALU_DEP_1) | instskip(NEXT) | instid1(VALU_DEP_1)
	v_cndmask_b32_e64 v67, v67, -|v67|, s23
	v_fmac_f32_e32 v131, 0x42340000, v67
	v_fma_f32 v67, -v65, v68, 1.0
	v_cndmask_b32_e64 v68, 0, 1.0, s6
	s_delay_alu instid0(VALU_DEP_2) | instskip(NEXT) | instid1(VALU_DEP_2)
	v_cndmask_b32_e64 v67, v67, 1.0, vcc_lo
	v_mul_f32_e32 v68, v132, v68
	s_delay_alu instid0(VALU_DEP_1) | instskip(SKIP_1) | instid1(VALU_DEP_1)
	v_fmac_f32_e32 v131, v67, v68
	v_dual_sub_f32 v68, v191, v177 :: v_dual_sub_f32 v67, v190, v176
	v_mul_f32_e32 v68, v68, v68
	s_delay_alu instid0(VALU_DEP_1) | instskip(NEXT) | instid1(VALU_DEP_1)
	v_dual_sub_f32 v69, v0, v178 :: v_dual_fmac_f32 v68, v67, v67
	v_fmac_f32_e32 v68, v69, v69
	s_delay_alu instid0(VALU_DEP_1) | instskip(SKIP_1) | instid1(VALU_DEP_1)
	v_cmp_gt_f32_e32 vcc_lo, 0xf800000, v68
	v_mul_f32_e32 v67, 0x4f800000, v68
	v_cndmask_b32_e32 v67, v68, v67, vcc_lo
	s_delay_alu instid0(VALU_DEP_1) | instskip(SKIP_2) | instid1(VALU_DEP_1)
	v_sqrt_f32_e32 v68, v67
	s_waitcnt_depctr 0xfff
	v_add_nc_u32_e32 v69, -1, v68
	v_fma_f32 v70, -v69, v68, v67
	s_delay_alu instid0(VALU_DEP_1) | instskip(SKIP_1) | instid1(VALU_DEP_2)
	v_cmp_ge_f32_e64 s6, 0, v70
	v_add_nc_u32_e32 v70, 1, v68
	v_cndmask_b32_e64 v69, v68, v69, s6
	s_delay_alu instid0(VALU_DEP_2) | instskip(NEXT) | instid1(VALU_DEP_1)
	v_fma_f32 v68, -v70, v68, v67
	v_cmp_lt_f32_e64 s6, 0, v68
	s_delay_alu instid0(VALU_DEP_1) | instskip(NEXT) | instid1(VALU_DEP_1)
	v_cndmask_b32_e64 v68, v69, v70, s6
	v_mul_f32_e32 v69, 0x37800000, v68
	s_delay_alu instid0(VALU_DEP_1) | instskip(SKIP_1) | instid1(VALU_DEP_2)
	v_cndmask_b32_e32 v68, v68, v69, vcc_lo
	v_cmp_class_f32_e64 vcc_lo, v67, 0x260
	v_cndmask_b32_e32 v67, v68, v67, vcc_lo
	s_delay_alu instid0(VALU_DEP_1) | instskip(SKIP_1) | instid1(VALU_DEP_2)
	v_sub_f32_e32 v68, v67, v61
	v_fma_f32 v67, -v64, v67, 1.0
	v_cmp_gt_f32_e32 vcc_lo, 0, v68
	v_cmp_lt_f32_e64 s6, v68, v62
	v_cndmask_b32_e64 v69, 0, 0x42980000, vcc_lo
	s_delay_alu instid0(VALU_DEP_1) | instskip(SKIP_1) | instid1(VALU_DEP_4)
	v_fmac_f32_e32 v124, v67, v69
	v_fma_f32 v67, -v63, v68, 1.0
	v_cndmask_b32_e64 v69, 0, 1.0, s6
	v_cmp_lt_f32_e64 s6, v68, v179
	s_delay_alu instid0(VALU_DEP_3) | instskip(NEXT) | instid1(VALU_DEP_2)
	v_cndmask_b32_e64 v67, v67, 1.0, vcc_lo
	s_and_b32 s6, s5, s6
	s_delay_alu instid0(VALU_DEP_1) | instskip(NEXT) | instid1(VALU_DEP_1)
	v_mul_f32_e32 v67, v69, v67
	v_mul_f32_e32 v67, v66, v67
	s_delay_alu instid0(VALU_DEP_1) | instskip(NEXT) | instid1(VALU_DEP_1)
	v_cndmask_b32_e64 v67, v67, -|v67|, s23
	v_fmac_f32_e32 v124, 0x42340000, v67
	v_fma_f32 v67, -v65, v68, 1.0
	v_cndmask_b32_e64 v68, 0, 1.0, s6
	s_delay_alu instid0(VALU_DEP_2) | instskip(NEXT) | instid1(VALU_DEP_2)
	v_cndmask_b32_e64 v67, v67, 1.0, vcc_lo
	v_mul_f32_e32 v68, v132, v68
	s_delay_alu instid0(VALU_DEP_1) | instskip(SKIP_1) | instid1(VALU_DEP_1)
	v_fmac_f32_e32 v124, v67, v68
	v_dual_sub_f32 v68, v2, v177 :: v_dual_sub_f32 v67, v1, v176
	v_dual_sub_f32 v69, v3, v178 :: v_dual_mul_f32 v68, v68, v68
	s_delay_alu instid0(VALU_DEP_1) | instskip(NEXT) | instid1(VALU_DEP_1)
	v_fmac_f32_e32 v68, v67, v67
	v_fmac_f32_e32 v68, v69, v69
	s_delay_alu instid0(VALU_DEP_1) | instskip(SKIP_1) | instid1(VALU_DEP_1)
	v_cmp_gt_f32_e32 vcc_lo, 0xf800000, v68
	v_mul_f32_e32 v67, 0x4f800000, v68
	v_cndmask_b32_e32 v67, v68, v67, vcc_lo
	s_delay_alu instid0(VALU_DEP_1) | instskip(SKIP_2) | instid1(VALU_DEP_1)
	v_sqrt_f32_e32 v68, v67
	s_waitcnt_depctr 0xfff
	v_add_nc_u32_e32 v69, -1, v68
	v_fma_f32 v70, -v69, v68, v67
	s_delay_alu instid0(VALU_DEP_1) | instskip(SKIP_1) | instid1(VALU_DEP_2)
	v_cmp_ge_f32_e64 s6, 0, v70
	v_add_nc_u32_e32 v70, 1, v68
	v_cndmask_b32_e64 v69, v68, v69, s6
	s_delay_alu instid0(VALU_DEP_2) | instskip(NEXT) | instid1(VALU_DEP_1)
	v_fma_f32 v68, -v70, v68, v67
	v_cmp_lt_f32_e64 s6, 0, v68
	s_delay_alu instid0(VALU_DEP_1) | instskip(NEXT) | instid1(VALU_DEP_1)
	v_cndmask_b32_e64 v68, v69, v70, s6
	v_mul_f32_e32 v69, 0x37800000, v68
	s_delay_alu instid0(VALU_DEP_1) | instskip(SKIP_1) | instid1(VALU_DEP_2)
	v_cndmask_b32_e32 v68, v68, v69, vcc_lo
	v_cmp_class_f32_e64 vcc_lo, v67, 0x260
	v_cndmask_b32_e32 v67, v68, v67, vcc_lo
	s_delay_alu instid0(VALU_DEP_1) | instskip(SKIP_1) | instid1(VALU_DEP_2)
	v_sub_f32_e32 v68, v67, v61
	v_fma_f32 v67, -v64, v67, 1.0
	v_cmp_gt_f32_e32 vcc_lo, 0, v68
	v_cmp_lt_f32_e64 s6, v68, v62
	v_cndmask_b32_e64 v69, 0, 0x42980000, vcc_lo
	s_delay_alu instid0(VALU_DEP_1) | instskip(SKIP_1) | instid1(VALU_DEP_4)
	v_fmac_f32_e32 v125, v67, v69
	v_fma_f32 v67, -v63, v68, 1.0
	v_cndmask_b32_e64 v69, 0, 1.0, s6
	v_cmp_lt_f32_e64 s6, v68, v179
	s_delay_alu instid0(VALU_DEP_3) | instskip(NEXT) | instid1(VALU_DEP_2)
	v_cndmask_b32_e64 v67, v67, 1.0, vcc_lo
	s_and_b32 s6, s5, s6
	s_delay_alu instid0(VALU_DEP_1) | instskip(SKIP_1) | instid1(VALU_DEP_2)
	v_mul_f32_e32 v67, v69, v67
	v_sub_f32_e32 v69, v6, v178
	v_mul_f32_e32 v67, v66, v67
	s_delay_alu instid0(VALU_DEP_1) | instskip(NEXT) | instid1(VALU_DEP_1)
	v_cndmask_b32_e64 v67, v67, -|v67|, s23
	v_fmac_f32_e32 v125, 0x42340000, v67
	v_fma_f32 v67, -v65, v68, 1.0
	v_cndmask_b32_e64 v68, 0, 1.0, s6
	s_delay_alu instid0(VALU_DEP_2) | instskip(NEXT) | instid1(VALU_DEP_2)
	v_cndmask_b32_e64 v67, v67, 1.0, vcc_lo
	v_mul_f32_e32 v68, v132, v68
	s_delay_alu instid0(VALU_DEP_1) | instskip(SKIP_1) | instid1(VALU_DEP_2)
	v_dual_fmac_f32 v125, v67, v68 :: v_dual_sub_f32 v68, v5, v177
	v_sub_f32_e32 v67, v4, v176
	v_mul_f32_e32 v68, v68, v68
	s_delay_alu instid0(VALU_DEP_1) | instskip(NEXT) | instid1(VALU_DEP_1)
	v_fmac_f32_e32 v68, v67, v67
	v_fmac_f32_e32 v68, v69, v69
	s_delay_alu instid0(VALU_DEP_1) | instskip(SKIP_1) | instid1(VALU_DEP_1)
	v_cmp_gt_f32_e32 vcc_lo, 0xf800000, v68
	v_mul_f32_e32 v67, 0x4f800000, v68
	v_cndmask_b32_e32 v67, v68, v67, vcc_lo
	s_delay_alu instid0(VALU_DEP_1) | instskip(SKIP_2) | instid1(VALU_DEP_1)
	v_sqrt_f32_e32 v68, v67
	s_waitcnt_depctr 0xfff
	v_add_nc_u32_e32 v69, -1, v68
	v_fma_f32 v70, -v69, v68, v67
	s_delay_alu instid0(VALU_DEP_1) | instskip(SKIP_1) | instid1(VALU_DEP_2)
	v_cmp_ge_f32_e64 s6, 0, v70
	v_add_nc_u32_e32 v70, 1, v68
	v_cndmask_b32_e64 v69, v68, v69, s6
	s_delay_alu instid0(VALU_DEP_2) | instskip(NEXT) | instid1(VALU_DEP_1)
	v_fma_f32 v68, -v70, v68, v67
	v_cmp_lt_f32_e64 s6, 0, v68
	s_delay_alu instid0(VALU_DEP_1) | instskip(NEXT) | instid1(VALU_DEP_1)
	v_cndmask_b32_e64 v68, v69, v70, s6
	v_mul_f32_e32 v69, 0x37800000, v68
	s_delay_alu instid0(VALU_DEP_1) | instskip(SKIP_1) | instid1(VALU_DEP_2)
	v_cndmask_b32_e32 v68, v68, v69, vcc_lo
	v_cmp_class_f32_e64 vcc_lo, v67, 0x260
	v_cndmask_b32_e32 v67, v68, v67, vcc_lo
	s_delay_alu instid0(VALU_DEP_1) | instskip(SKIP_1) | instid1(VALU_DEP_2)
	v_sub_f32_e32 v68, v67, v61
	v_fma_f32 v67, -v64, v67, 1.0
	v_cmp_gt_f32_e32 vcc_lo, 0, v68
	v_cmp_lt_f32_e64 s6, v68, v62
	v_cndmask_b32_e64 v69, 0, 0x42980000, vcc_lo
	s_delay_alu instid0(VALU_DEP_1) | instskip(SKIP_1) | instid1(VALU_DEP_4)
	v_fmac_f32_e32 v126, v67, v69
	v_fma_f32 v67, -v63, v68, 1.0
	v_cndmask_b32_e64 v69, 0, 1.0, s6
	v_cmp_lt_f32_e64 s6, v68, v179
	s_delay_alu instid0(VALU_DEP_3) | instskip(NEXT) | instid1(VALU_DEP_2)
	v_cndmask_b32_e64 v67, v67, 1.0, vcc_lo
	s_and_b32 s6, s5, s6
	s_delay_alu instid0(VALU_DEP_1) | instskip(SKIP_1) | instid1(VALU_DEP_2)
	v_mul_f32_e32 v67, v69, v67
	v_sub_f32_e32 v69, v9, v178
	v_mul_f32_e32 v67, v66, v67
	s_delay_alu instid0(VALU_DEP_1) | instskip(NEXT) | instid1(VALU_DEP_1)
	v_cndmask_b32_e64 v67, v67, -|v67|, s23
	v_fmac_f32_e32 v126, 0x42340000, v67
	v_fma_f32 v67, -v65, v68, 1.0
	v_cndmask_b32_e64 v68, 0, 1.0, s6
	s_delay_alu instid0(VALU_DEP_2) | instskip(NEXT) | instid1(VALU_DEP_2)
	v_cndmask_b32_e64 v67, v67, 1.0, vcc_lo
	v_mul_f32_e32 v68, v132, v68
	s_delay_alu instid0(VALU_DEP_1) | instskip(SKIP_1) | instid1(VALU_DEP_1)
	v_fmac_f32_e32 v126, v67, v68
	v_dual_sub_f32 v68, v8, v177 :: v_dual_sub_f32 v67, v7, v176
	v_mul_f32_e32 v68, v68, v68
	s_delay_alu instid0(VALU_DEP_1) | instskip(NEXT) | instid1(VALU_DEP_1)
	v_fmac_f32_e32 v68, v67, v67
	v_fmac_f32_e32 v68, v69, v69
	s_delay_alu instid0(VALU_DEP_1) | instskip(SKIP_1) | instid1(VALU_DEP_1)
	v_cmp_gt_f32_e32 vcc_lo, 0xf800000, v68
	v_mul_f32_e32 v67, 0x4f800000, v68
	v_cndmask_b32_e32 v67, v68, v67, vcc_lo
	s_delay_alu instid0(VALU_DEP_1) | instskip(SKIP_2) | instid1(VALU_DEP_1)
	v_sqrt_f32_e32 v68, v67
	s_waitcnt_depctr 0xfff
	v_add_nc_u32_e32 v69, -1, v68
	v_fma_f32 v70, -v69, v68, v67
	s_delay_alu instid0(VALU_DEP_1) | instskip(SKIP_1) | instid1(VALU_DEP_2)
	v_cmp_ge_f32_e64 s6, 0, v70
	v_add_nc_u32_e32 v70, 1, v68
	v_cndmask_b32_e64 v69, v68, v69, s6
	s_delay_alu instid0(VALU_DEP_2) | instskip(NEXT) | instid1(VALU_DEP_1)
	v_fma_f32 v68, -v70, v68, v67
	v_cmp_lt_f32_e64 s6, 0, v68
	s_delay_alu instid0(VALU_DEP_1) | instskip(NEXT) | instid1(VALU_DEP_1)
	v_cndmask_b32_e64 v68, v69, v70, s6
	v_mul_f32_e32 v69, 0x37800000, v68
	s_delay_alu instid0(VALU_DEP_1) | instskip(SKIP_1) | instid1(VALU_DEP_2)
	v_cndmask_b32_e32 v68, v68, v69, vcc_lo
	v_cmp_class_f32_e64 vcc_lo, v67, 0x260
	v_cndmask_b32_e32 v67, v68, v67, vcc_lo
	s_delay_alu instid0(VALU_DEP_1) | instskip(SKIP_1) | instid1(VALU_DEP_2)
	v_sub_f32_e32 v68, v67, v61
	v_fma_f32 v67, -v64, v67, 1.0
	v_cmp_gt_f32_e32 vcc_lo, 0, v68
	v_cmp_lt_f32_e64 s6, v68, v62
	v_cndmask_b32_e64 v69, 0, 0x42980000, vcc_lo
	s_delay_alu instid0(VALU_DEP_1) | instskip(SKIP_1) | instid1(VALU_DEP_4)
	v_fmac_f32_e32 v127, v67, v69
	v_fma_f32 v67, -v63, v68, 1.0
	v_cndmask_b32_e64 v69, 0, 1.0, s6
	v_cmp_lt_f32_e64 s6, v68, v179
	s_delay_alu instid0(VALU_DEP_3) | instskip(NEXT) | instid1(VALU_DEP_2)
	v_cndmask_b32_e64 v67, v67, 1.0, vcc_lo
	s_and_b32 s6, s5, s6
	s_delay_alu instid0(VALU_DEP_1) | instskip(SKIP_1) | instid1(VALU_DEP_2)
	v_mul_f32_e32 v67, v69, v67
	v_sub_f32_e32 v69, v12, v178
	v_mul_f32_e32 v67, v66, v67
	s_delay_alu instid0(VALU_DEP_1) | instskip(NEXT) | instid1(VALU_DEP_1)
	v_cndmask_b32_e64 v67, v67, -|v67|, s23
	v_fmac_f32_e32 v127, 0x42340000, v67
	v_fma_f32 v67, -v65, v68, 1.0
	v_cndmask_b32_e64 v68, 0, 1.0, s6
	s_delay_alu instid0(VALU_DEP_2) | instskip(NEXT) | instid1(VALU_DEP_2)
	v_cndmask_b32_e64 v67, v67, 1.0, vcc_lo
	v_mul_f32_e32 v68, v132, v68
	s_delay_alu instid0(VALU_DEP_1) | instskip(SKIP_1) | instid1(VALU_DEP_1)
	v_fmac_f32_e32 v127, v67, v68
	v_dual_sub_f32 v68, v11, v177 :: v_dual_sub_f32 v67, v10, v176
	v_mul_f32_e32 v68, v68, v68
	s_delay_alu instid0(VALU_DEP_1) | instskip(NEXT) | instid1(VALU_DEP_1)
	v_fmac_f32_e32 v68, v67, v67
	v_fmac_f32_e32 v68, v69, v69
	s_delay_alu instid0(VALU_DEP_1) | instskip(SKIP_1) | instid1(VALU_DEP_1)
	v_cmp_gt_f32_e32 vcc_lo, 0xf800000, v68
	v_mul_f32_e32 v67, 0x4f800000, v68
	v_cndmask_b32_e32 v67, v68, v67, vcc_lo
	s_delay_alu instid0(VALU_DEP_1) | instskip(SKIP_2) | instid1(VALU_DEP_1)
	v_sqrt_f32_e32 v68, v67
	s_waitcnt_depctr 0xfff
	v_add_nc_u32_e32 v69, -1, v68
	v_fma_f32 v70, -v69, v68, v67
	s_delay_alu instid0(VALU_DEP_1) | instskip(SKIP_1) | instid1(VALU_DEP_2)
	v_cmp_ge_f32_e64 s6, 0, v70
	v_add_nc_u32_e32 v70, 1, v68
	v_cndmask_b32_e64 v69, v68, v69, s6
	s_delay_alu instid0(VALU_DEP_2) | instskip(NEXT) | instid1(VALU_DEP_1)
	v_fma_f32 v68, -v70, v68, v67
	v_cmp_lt_f32_e64 s6, 0, v68
	s_delay_alu instid0(VALU_DEP_1) | instskip(NEXT) | instid1(VALU_DEP_1)
	v_cndmask_b32_e64 v68, v69, v70, s6
	v_mul_f32_e32 v69, 0x37800000, v68
	s_delay_alu instid0(VALU_DEP_1) | instskip(SKIP_1) | instid1(VALU_DEP_2)
	v_cndmask_b32_e32 v68, v68, v69, vcc_lo
	v_cmp_class_f32_e64 vcc_lo, v67, 0x260
	v_cndmask_b32_e32 v67, v68, v67, vcc_lo
	s_delay_alu instid0(VALU_DEP_1) | instskip(SKIP_1) | instid1(VALU_DEP_2)
	v_sub_f32_e32 v68, v67, v61
	v_fma_f32 v67, -v64, v67, 1.0
	v_cmp_gt_f32_e32 vcc_lo, 0, v68
	v_cmp_lt_f32_e64 s6, v68, v62
	v_cndmask_b32_e64 v69, 0, 0x42980000, vcc_lo
	s_delay_alu instid0(VALU_DEP_1) | instskip(SKIP_1) | instid1(VALU_DEP_4)
	v_fmac_f32_e32 v120, v67, v69
	v_fma_f32 v67, -v63, v68, 1.0
	v_cndmask_b32_e64 v69, 0, 1.0, s6
	v_cmp_lt_f32_e64 s6, v68, v179
	s_delay_alu instid0(VALU_DEP_3) | instskip(NEXT) | instid1(VALU_DEP_2)
	v_cndmask_b32_e64 v67, v67, 1.0, vcc_lo
	s_and_b32 s6, s5, s6
	s_delay_alu instid0(VALU_DEP_1) | instskip(NEXT) | instid1(VALU_DEP_1)
	v_mul_f32_e32 v67, v69, v67
	v_mul_f32_e32 v67, v66, v67
	s_delay_alu instid0(VALU_DEP_1) | instskip(NEXT) | instid1(VALU_DEP_1)
	v_cndmask_b32_e64 v67, v67, -|v67|, s23
	v_fmac_f32_e32 v120, 0x42340000, v67
	v_fma_f32 v67, -v65, v68, 1.0
	v_cndmask_b32_e64 v68, 0, 1.0, s6
	s_delay_alu instid0(VALU_DEP_2) | instskip(NEXT) | instid1(VALU_DEP_2)
	v_cndmask_b32_e64 v67, v67, 1.0, vcc_lo
	v_mul_f32_e32 v68, v132, v68
	s_delay_alu instid0(VALU_DEP_1) | instskip(SKIP_1) | instid1(VALU_DEP_1)
	v_fmac_f32_e32 v120, v67, v68
	v_dual_sub_f32 v68, v14, v177 :: v_dual_sub_f32 v67, v13, v176
	v_dual_sub_f32 v69, v15, v178 :: v_dual_mul_f32 v68, v68, v68
	s_delay_alu instid0(VALU_DEP_1) | instskip(NEXT) | instid1(VALU_DEP_1)
	v_fmac_f32_e32 v68, v67, v67
	v_fmac_f32_e32 v68, v69, v69
	s_delay_alu instid0(VALU_DEP_1) | instskip(SKIP_1) | instid1(VALU_DEP_1)
	v_cmp_gt_f32_e32 vcc_lo, 0xf800000, v68
	v_mul_f32_e32 v67, 0x4f800000, v68
	v_cndmask_b32_e32 v67, v68, v67, vcc_lo
	s_delay_alu instid0(VALU_DEP_1) | instskip(SKIP_2) | instid1(VALU_DEP_1)
	v_sqrt_f32_e32 v68, v67
	s_waitcnt_depctr 0xfff
	v_add_nc_u32_e32 v69, -1, v68
	v_fma_f32 v70, -v69, v68, v67
	s_delay_alu instid0(VALU_DEP_1) | instskip(SKIP_1) | instid1(VALU_DEP_2)
	v_cmp_ge_f32_e64 s6, 0, v70
	v_add_nc_u32_e32 v70, 1, v68
	v_cndmask_b32_e64 v69, v68, v69, s6
	s_delay_alu instid0(VALU_DEP_2) | instskip(NEXT) | instid1(VALU_DEP_1)
	v_fma_f32 v68, -v70, v68, v67
	v_cmp_lt_f32_e64 s6, 0, v68
	s_delay_alu instid0(VALU_DEP_1) | instskip(NEXT) | instid1(VALU_DEP_1)
	v_cndmask_b32_e64 v68, v69, v70, s6
	v_mul_f32_e32 v69, 0x37800000, v68
	s_delay_alu instid0(VALU_DEP_1) | instskip(SKIP_1) | instid1(VALU_DEP_2)
	v_cndmask_b32_e32 v68, v68, v69, vcc_lo
	v_cmp_class_f32_e64 vcc_lo, v67, 0x260
	v_cndmask_b32_e32 v67, v68, v67, vcc_lo
	s_delay_alu instid0(VALU_DEP_1) | instskip(SKIP_1) | instid1(VALU_DEP_2)
	v_sub_f32_e32 v68, v67, v61
	v_fma_f32 v67, -v64, v67, 1.0
	v_cmp_gt_f32_e32 vcc_lo, 0, v68
	v_cmp_lt_f32_e64 s6, v68, v62
	v_cndmask_b32_e64 v69, 0, 0x42980000, vcc_lo
	s_delay_alu instid0(VALU_DEP_1) | instskip(SKIP_1) | instid1(VALU_DEP_4)
	v_fmac_f32_e32 v121, v67, v69
	v_fma_f32 v67, -v63, v68, 1.0
	v_cndmask_b32_e64 v69, 0, 1.0, s6
	v_cmp_lt_f32_e64 s6, v68, v179
	s_delay_alu instid0(VALU_DEP_3) | instskip(NEXT) | instid1(VALU_DEP_2)
	v_cndmask_b32_e64 v67, v67, 1.0, vcc_lo
	s_and_b32 s6, s5, s6
	s_delay_alu instid0(VALU_DEP_1) | instskip(SKIP_1) | instid1(VALU_DEP_2)
	v_mul_f32_e32 v67, v69, v67
	v_sub_f32_e32 v69, v18, v178
	v_mul_f32_e32 v67, v66, v67
	s_delay_alu instid0(VALU_DEP_1) | instskip(NEXT) | instid1(VALU_DEP_1)
	v_cndmask_b32_e64 v67, v67, -|v67|, s23
	v_fmac_f32_e32 v121, 0x42340000, v67
	v_fma_f32 v67, -v65, v68, 1.0
	v_cndmask_b32_e64 v68, 0, 1.0, s6
	s_delay_alu instid0(VALU_DEP_2) | instskip(NEXT) | instid1(VALU_DEP_2)
	v_cndmask_b32_e64 v67, v67, 1.0, vcc_lo
	v_mul_f32_e32 v68, v132, v68
	s_delay_alu instid0(VALU_DEP_1) | instskip(SKIP_1) | instid1(VALU_DEP_2)
	v_dual_fmac_f32 v121, v67, v68 :: v_dual_sub_f32 v68, v17, v177
	v_sub_f32_e32 v67, v16, v176
	v_mul_f32_e32 v68, v68, v68
	s_delay_alu instid0(VALU_DEP_1) | instskip(NEXT) | instid1(VALU_DEP_1)
	v_fmac_f32_e32 v68, v67, v67
	v_fmac_f32_e32 v68, v69, v69
	s_delay_alu instid0(VALU_DEP_1) | instskip(SKIP_1) | instid1(VALU_DEP_1)
	v_cmp_gt_f32_e32 vcc_lo, 0xf800000, v68
	v_mul_f32_e32 v67, 0x4f800000, v68
	v_cndmask_b32_e32 v67, v68, v67, vcc_lo
	s_delay_alu instid0(VALU_DEP_1) | instskip(SKIP_2) | instid1(VALU_DEP_1)
	v_sqrt_f32_e32 v68, v67
	s_waitcnt_depctr 0xfff
	v_add_nc_u32_e32 v69, -1, v68
	v_fma_f32 v70, -v69, v68, v67
	s_delay_alu instid0(VALU_DEP_1) | instskip(SKIP_1) | instid1(VALU_DEP_2)
	v_cmp_ge_f32_e64 s6, 0, v70
	v_add_nc_u32_e32 v70, 1, v68
	v_cndmask_b32_e64 v69, v68, v69, s6
	s_delay_alu instid0(VALU_DEP_2) | instskip(NEXT) | instid1(VALU_DEP_1)
	v_fma_f32 v68, -v70, v68, v67
	v_cmp_lt_f32_e64 s6, 0, v68
	s_delay_alu instid0(VALU_DEP_1) | instskip(NEXT) | instid1(VALU_DEP_1)
	v_cndmask_b32_e64 v68, v69, v70, s6
	v_mul_f32_e32 v69, 0x37800000, v68
	s_delay_alu instid0(VALU_DEP_1) | instskip(SKIP_1) | instid1(VALU_DEP_2)
	v_cndmask_b32_e32 v68, v68, v69, vcc_lo
	v_cmp_class_f32_e64 vcc_lo, v67, 0x260
	v_cndmask_b32_e32 v67, v68, v67, vcc_lo
	s_delay_alu instid0(VALU_DEP_1) | instskip(SKIP_1) | instid1(VALU_DEP_2)
	v_sub_f32_e32 v68, v67, v61
	v_fma_f32 v67, -v64, v67, 1.0
	v_cmp_gt_f32_e32 vcc_lo, 0, v68
	v_cmp_lt_f32_e64 s6, v68, v62
	v_cndmask_b32_e64 v69, 0, 0x42980000, vcc_lo
	s_delay_alu instid0(VALU_DEP_1) | instskip(SKIP_1) | instid1(VALU_DEP_4)
	v_fmac_f32_e32 v122, v67, v69
	v_fma_f32 v67, -v63, v68, 1.0
	v_cndmask_b32_e64 v69, 0, 1.0, s6
	v_cmp_lt_f32_e64 s6, v68, v179
	s_delay_alu instid0(VALU_DEP_3) | instskip(NEXT) | instid1(VALU_DEP_2)
	v_cndmask_b32_e64 v67, v67, 1.0, vcc_lo
	s_and_b32 s6, s5, s6
	s_delay_alu instid0(VALU_DEP_1) | instskip(SKIP_1) | instid1(VALU_DEP_2)
	v_mul_f32_e32 v67, v69, v67
	v_sub_f32_e32 v69, v21, v178
	v_mul_f32_e32 v67, v66, v67
	s_delay_alu instid0(VALU_DEP_1) | instskip(NEXT) | instid1(VALU_DEP_1)
	v_cndmask_b32_e64 v67, v67, -|v67|, s23
	v_fmac_f32_e32 v122, 0x42340000, v67
	v_fma_f32 v67, -v65, v68, 1.0
	v_cndmask_b32_e64 v68, 0, 1.0, s6
	s_delay_alu instid0(VALU_DEP_2) | instskip(NEXT) | instid1(VALU_DEP_2)
	v_cndmask_b32_e64 v67, v67, 1.0, vcc_lo
	v_mul_f32_e32 v68, v132, v68
	s_delay_alu instid0(VALU_DEP_1) | instskip(SKIP_1) | instid1(VALU_DEP_1)
	v_fmac_f32_e32 v122, v67, v68
	v_dual_sub_f32 v68, v20, v177 :: v_dual_sub_f32 v67, v19, v176
	v_mul_f32_e32 v68, v68, v68
	s_delay_alu instid0(VALU_DEP_1) | instskip(NEXT) | instid1(VALU_DEP_1)
	v_fmac_f32_e32 v68, v67, v67
	v_fmac_f32_e32 v68, v69, v69
	s_delay_alu instid0(VALU_DEP_1) | instskip(SKIP_1) | instid1(VALU_DEP_1)
	v_cmp_gt_f32_e32 vcc_lo, 0xf800000, v68
	v_mul_f32_e32 v67, 0x4f800000, v68
	v_cndmask_b32_e32 v67, v68, v67, vcc_lo
	s_delay_alu instid0(VALU_DEP_1) | instskip(SKIP_2) | instid1(VALU_DEP_1)
	v_sqrt_f32_e32 v68, v67
	s_waitcnt_depctr 0xfff
	v_add_nc_u32_e32 v69, -1, v68
	v_fma_f32 v70, -v69, v68, v67
	s_delay_alu instid0(VALU_DEP_1) | instskip(SKIP_1) | instid1(VALU_DEP_2)
	v_cmp_ge_f32_e64 s6, 0, v70
	v_add_nc_u32_e32 v70, 1, v68
	v_cndmask_b32_e64 v69, v68, v69, s6
	s_delay_alu instid0(VALU_DEP_2) | instskip(NEXT) | instid1(VALU_DEP_1)
	v_fma_f32 v68, -v70, v68, v67
	v_cmp_lt_f32_e64 s6, 0, v68
	s_delay_alu instid0(VALU_DEP_1) | instskip(NEXT) | instid1(VALU_DEP_1)
	v_cndmask_b32_e64 v68, v69, v70, s6
	v_mul_f32_e32 v69, 0x37800000, v68
	s_delay_alu instid0(VALU_DEP_1) | instskip(SKIP_1) | instid1(VALU_DEP_2)
	v_cndmask_b32_e32 v68, v68, v69, vcc_lo
	v_cmp_class_f32_e64 vcc_lo, v67, 0x260
	v_cndmask_b32_e32 v67, v68, v67, vcc_lo
	s_delay_alu instid0(VALU_DEP_1) | instskip(SKIP_1) | instid1(VALU_DEP_2)
	v_sub_f32_e32 v68, v67, v61
	v_fma_f32 v67, -v64, v67, 1.0
	v_cmp_gt_f32_e32 vcc_lo, 0, v68
	v_cmp_lt_f32_e64 s6, v68, v62
	v_cndmask_b32_e64 v69, 0, 0x42980000, vcc_lo
	s_delay_alu instid0(VALU_DEP_1) | instskip(SKIP_1) | instid1(VALU_DEP_4)
	v_fmac_f32_e32 v123, v67, v69
	v_fma_f32 v67, -v63, v68, 1.0
	v_cndmask_b32_e64 v69, 0, 1.0, s6
	v_cmp_lt_f32_e64 s6, v68, v179
	s_delay_alu instid0(VALU_DEP_3) | instskip(NEXT) | instid1(VALU_DEP_2)
	v_cndmask_b32_e64 v67, v67, 1.0, vcc_lo
	s_and_b32 s6, s5, s6
	s_delay_alu instid0(VALU_DEP_1) | instskip(SKIP_1) | instid1(VALU_DEP_2)
	v_mul_f32_e32 v67, v69, v67
	v_sub_f32_e32 v69, v24, v178
	v_mul_f32_e32 v67, v66, v67
	s_delay_alu instid0(VALU_DEP_1) | instskip(NEXT) | instid1(VALU_DEP_1)
	v_cndmask_b32_e64 v67, v67, -|v67|, s23
	v_fmac_f32_e32 v123, 0x42340000, v67
	v_fma_f32 v67, -v65, v68, 1.0
	v_cndmask_b32_e64 v68, 0, 1.0, s6
	s_delay_alu instid0(VALU_DEP_2) | instskip(NEXT) | instid1(VALU_DEP_2)
	v_cndmask_b32_e64 v67, v67, 1.0, vcc_lo
	v_mul_f32_e32 v68, v132, v68
	s_delay_alu instid0(VALU_DEP_1) | instskip(SKIP_1) | instid1(VALU_DEP_1)
	v_fmac_f32_e32 v123, v67, v68
	v_dual_sub_f32 v68, v23, v177 :: v_dual_sub_f32 v67, v22, v176
	;; [unrolled: 56-line block ×3, first 2 shown]
	v_mul_f32_e32 v68, v68, v68
	s_delay_alu instid0(VALU_DEP_1) | instskip(NEXT) | instid1(VALU_DEP_1)
	v_fmac_f32_e32 v68, v67, v67
	v_fmac_f32_e32 v68, v69, v69
	s_delay_alu instid0(VALU_DEP_1) | instskip(SKIP_1) | instid1(VALU_DEP_1)
	v_cmp_gt_f32_e32 vcc_lo, 0xf800000, v68
	v_mul_f32_e32 v67, 0x4f800000, v68
	v_cndmask_b32_e32 v67, v68, v67, vcc_lo
	s_delay_alu instid0(VALU_DEP_1) | instskip(SKIP_2) | instid1(VALU_DEP_1)
	v_sqrt_f32_e32 v68, v67
	s_waitcnt_depctr 0xfff
	v_add_nc_u32_e32 v69, -1, v68
	v_fma_f32 v70, -v69, v68, v67
	s_delay_alu instid0(VALU_DEP_1) | instskip(SKIP_1) | instid1(VALU_DEP_2)
	v_cmp_ge_f32_e64 s6, 0, v70
	v_add_nc_u32_e32 v70, 1, v68
	v_cndmask_b32_e64 v69, v68, v69, s6
	s_delay_alu instid0(VALU_DEP_2) | instskip(NEXT) | instid1(VALU_DEP_1)
	v_fma_f32 v68, -v70, v68, v67
	v_cmp_lt_f32_e64 s6, 0, v68
	s_delay_alu instid0(VALU_DEP_1) | instskip(NEXT) | instid1(VALU_DEP_1)
	v_cndmask_b32_e64 v68, v69, v70, s6
	v_mul_f32_e32 v69, 0x37800000, v68
	s_delay_alu instid0(VALU_DEP_1) | instskip(SKIP_1) | instid1(VALU_DEP_2)
	v_cndmask_b32_e32 v68, v68, v69, vcc_lo
	v_cmp_class_f32_e64 vcc_lo, v67, 0x260
	v_cndmask_b32_e32 v67, v68, v67, vcc_lo
	s_delay_alu instid0(VALU_DEP_1) | instskip(SKIP_1) | instid1(VALU_DEP_2)
	v_sub_f32_e32 v68, v67, v61
	v_fma_f32 v67, -v64, v67, 1.0
	v_cmp_gt_f32_e32 vcc_lo, 0, v68
	v_cmp_lt_f32_e64 s6, v68, v62
	v_cndmask_b32_e64 v69, 0, 0x42980000, vcc_lo
	s_delay_alu instid0(VALU_DEP_1) | instskip(SKIP_1) | instid1(VALU_DEP_4)
	v_fmac_f32_e32 v117, v67, v69
	v_fma_f32 v67, -v63, v68, 1.0
	v_cndmask_b32_e64 v69, 0, 1.0, s6
	v_cmp_lt_f32_e64 s6, v68, v179
	s_delay_alu instid0(VALU_DEP_3) | instskip(NEXT) | instid1(VALU_DEP_2)
	v_cndmask_b32_e64 v67, v67, 1.0, vcc_lo
	s_and_b32 s6, s5, s6
	s_delay_alu instid0(VALU_DEP_1) | instskip(SKIP_1) | instid1(VALU_DEP_2)
	v_mul_f32_e32 v67, v69, v67
	v_sub_f32_e32 v69, v30, v178
	v_mul_f32_e32 v67, v66, v67
	s_delay_alu instid0(VALU_DEP_1) | instskip(NEXT) | instid1(VALU_DEP_1)
	v_cndmask_b32_e64 v67, v67, -|v67|, s23
	v_fmac_f32_e32 v117, 0x42340000, v67
	v_fma_f32 v67, -v65, v68, 1.0
	v_cndmask_b32_e64 v68, 0, 1.0, s6
	s_delay_alu instid0(VALU_DEP_2) | instskip(NEXT) | instid1(VALU_DEP_2)
	v_cndmask_b32_e64 v67, v67, 1.0, vcc_lo
	v_mul_f32_e32 v68, v132, v68
	s_delay_alu instid0(VALU_DEP_1) | instskip(SKIP_1) | instid1(VALU_DEP_2)
	v_dual_fmac_f32 v117, v67, v68 :: v_dual_sub_f32 v68, v29, v177
	v_sub_f32_e32 v67, v28, v176
	v_mul_f32_e32 v68, v68, v68
	s_delay_alu instid0(VALU_DEP_1) | instskip(NEXT) | instid1(VALU_DEP_1)
	v_fmac_f32_e32 v68, v67, v67
	v_fmac_f32_e32 v68, v69, v69
	s_delay_alu instid0(VALU_DEP_1) | instskip(SKIP_1) | instid1(VALU_DEP_1)
	v_cmp_gt_f32_e32 vcc_lo, 0xf800000, v68
	v_mul_f32_e32 v67, 0x4f800000, v68
	v_cndmask_b32_e32 v67, v68, v67, vcc_lo
	s_delay_alu instid0(VALU_DEP_1) | instskip(SKIP_2) | instid1(VALU_DEP_1)
	v_sqrt_f32_e32 v68, v67
	s_waitcnt_depctr 0xfff
	v_add_nc_u32_e32 v69, -1, v68
	v_fma_f32 v70, -v69, v68, v67
	s_delay_alu instid0(VALU_DEP_1) | instskip(SKIP_1) | instid1(VALU_DEP_2)
	v_cmp_ge_f32_e64 s6, 0, v70
	v_add_nc_u32_e32 v70, 1, v68
	v_cndmask_b32_e64 v69, v68, v69, s6
	s_delay_alu instid0(VALU_DEP_2) | instskip(NEXT) | instid1(VALU_DEP_1)
	v_fma_f32 v68, -v70, v68, v67
	v_cmp_lt_f32_e64 s6, 0, v68
	s_delay_alu instid0(VALU_DEP_1) | instskip(NEXT) | instid1(VALU_DEP_1)
	v_cndmask_b32_e64 v68, v69, v70, s6
	v_mul_f32_e32 v69, 0x37800000, v68
	s_delay_alu instid0(VALU_DEP_1) | instskip(SKIP_1) | instid1(VALU_DEP_2)
	v_cndmask_b32_e32 v68, v68, v69, vcc_lo
	v_cmp_class_f32_e64 vcc_lo, v67, 0x260
	v_cndmask_b32_e32 v67, v68, v67, vcc_lo
	s_delay_alu instid0(VALU_DEP_1) | instskip(SKIP_1) | instid1(VALU_DEP_2)
	v_sub_f32_e32 v68, v67, v61
	v_fma_f32 v67, -v64, v67, 1.0
	v_cmp_gt_f32_e32 vcc_lo, 0, v68
	v_cmp_lt_f32_e64 s6, v68, v62
	v_cndmask_b32_e64 v69, 0, 0x42980000, vcc_lo
	s_delay_alu instid0(VALU_DEP_1) | instskip(SKIP_1) | instid1(VALU_DEP_4)
	v_fmac_f32_e32 v118, v67, v69
	v_fma_f32 v67, -v63, v68, 1.0
	v_cndmask_b32_e64 v69, 0, 1.0, s6
	v_cmp_lt_f32_e64 s6, v68, v179
	s_delay_alu instid0(VALU_DEP_3) | instskip(NEXT) | instid1(VALU_DEP_2)
	v_cndmask_b32_e64 v67, v67, 1.0, vcc_lo
	s_and_b32 s6, s5, s6
	s_delay_alu instid0(VALU_DEP_1) | instskip(SKIP_1) | instid1(VALU_DEP_2)
	v_mul_f32_e32 v67, v69, v67
	v_sub_f32_e32 v69, v33, v178
	v_mul_f32_e32 v67, v66, v67
	s_delay_alu instid0(VALU_DEP_1) | instskip(NEXT) | instid1(VALU_DEP_1)
	v_cndmask_b32_e64 v67, v67, -|v67|, s23
	v_fmac_f32_e32 v118, 0x42340000, v67
	v_fma_f32 v67, -v65, v68, 1.0
	v_cndmask_b32_e64 v68, 0, 1.0, s6
	s_delay_alu instid0(VALU_DEP_2) | instskip(NEXT) | instid1(VALU_DEP_2)
	v_cndmask_b32_e64 v67, v67, 1.0, vcc_lo
	v_mul_f32_e32 v68, v132, v68
	s_delay_alu instid0(VALU_DEP_1) | instskip(SKIP_1) | instid1(VALU_DEP_1)
	v_fmac_f32_e32 v118, v67, v68
	v_dual_sub_f32 v68, v32, v177 :: v_dual_sub_f32 v67, v31, v176
	v_mul_f32_e32 v68, v68, v68
	s_delay_alu instid0(VALU_DEP_1) | instskip(NEXT) | instid1(VALU_DEP_1)
	v_fmac_f32_e32 v68, v67, v67
	v_fmac_f32_e32 v68, v69, v69
	s_delay_alu instid0(VALU_DEP_1) | instskip(SKIP_1) | instid1(VALU_DEP_1)
	v_cmp_gt_f32_e32 vcc_lo, 0xf800000, v68
	v_mul_f32_e32 v67, 0x4f800000, v68
	v_cndmask_b32_e32 v67, v68, v67, vcc_lo
	s_delay_alu instid0(VALU_DEP_1) | instskip(SKIP_2) | instid1(VALU_DEP_1)
	v_sqrt_f32_e32 v68, v67
	s_waitcnt_depctr 0xfff
	v_add_nc_u32_e32 v69, -1, v68
	v_fma_f32 v70, -v69, v68, v67
	s_delay_alu instid0(VALU_DEP_1) | instskip(SKIP_1) | instid1(VALU_DEP_2)
	v_cmp_ge_f32_e64 s6, 0, v70
	v_add_nc_u32_e32 v70, 1, v68
	v_cndmask_b32_e64 v69, v68, v69, s6
	s_delay_alu instid0(VALU_DEP_2) | instskip(NEXT) | instid1(VALU_DEP_1)
	v_fma_f32 v68, -v70, v68, v67
	v_cmp_lt_f32_e64 s6, 0, v68
	s_delay_alu instid0(VALU_DEP_1) | instskip(NEXT) | instid1(VALU_DEP_1)
	v_cndmask_b32_e64 v68, v69, v70, s6
	v_mul_f32_e32 v69, 0x37800000, v68
	s_delay_alu instid0(VALU_DEP_1) | instskip(SKIP_1) | instid1(VALU_DEP_2)
	v_cndmask_b32_e32 v68, v68, v69, vcc_lo
	v_cmp_class_f32_e64 vcc_lo, v67, 0x260
	v_cndmask_b32_e32 v67, v68, v67, vcc_lo
	s_delay_alu instid0(VALU_DEP_1) | instskip(SKIP_1) | instid1(VALU_DEP_2)
	v_sub_f32_e32 v68, v67, v61
	v_fma_f32 v67, -v64, v67, 1.0
	v_cmp_gt_f32_e32 vcc_lo, 0, v68
	v_cmp_lt_f32_e64 s6, v68, v62
	v_cndmask_b32_e64 v69, 0, 0x42980000, vcc_lo
	s_delay_alu instid0(VALU_DEP_1) | instskip(SKIP_1) | instid1(VALU_DEP_4)
	v_fmac_f32_e32 v119, v67, v69
	v_fma_f32 v67, -v63, v68, 1.0
	v_cndmask_b32_e64 v69, 0, 1.0, s6
	v_cmp_lt_f32_e64 s6, v68, v179
	s_delay_alu instid0(VALU_DEP_3) | instskip(NEXT) | instid1(VALU_DEP_2)
	v_cndmask_b32_e64 v67, v67, 1.0, vcc_lo
	s_and_b32 s6, s5, s6
	s_delay_alu instid0(VALU_DEP_1) | instskip(SKIP_1) | instid1(VALU_DEP_2)
	v_mul_f32_e32 v67, v69, v67
	v_sub_f32_e32 v69, v36, v178
	v_mul_f32_e32 v67, v66, v67
	s_delay_alu instid0(VALU_DEP_1) | instskip(NEXT) | instid1(VALU_DEP_1)
	v_cndmask_b32_e64 v67, v67, -|v67|, s23
	v_fmac_f32_e32 v119, 0x42340000, v67
	v_fma_f32 v67, -v65, v68, 1.0
	v_cndmask_b32_e64 v68, 0, 1.0, s6
	s_delay_alu instid0(VALU_DEP_2) | instskip(NEXT) | instid1(VALU_DEP_2)
	v_cndmask_b32_e64 v67, v67, 1.0, vcc_lo
	v_mul_f32_e32 v68, v132, v68
	s_delay_alu instid0(VALU_DEP_1) | instskip(SKIP_1) | instid1(VALU_DEP_1)
	v_fmac_f32_e32 v119, v67, v68
	v_dual_sub_f32 v68, v35, v177 :: v_dual_sub_f32 v67, v34, v176
	;; [unrolled: 56-line block ×3, first 2 shown]
	v_mul_f32_e32 v68, v68, v68
	s_delay_alu instid0(VALU_DEP_1) | instskip(NEXT) | instid1(VALU_DEP_1)
	v_fmac_f32_e32 v68, v67, v67
	v_fmac_f32_e32 v68, v69, v69
	s_delay_alu instid0(VALU_DEP_1) | instskip(SKIP_1) | instid1(VALU_DEP_1)
	v_cmp_gt_f32_e32 vcc_lo, 0xf800000, v68
	v_mul_f32_e32 v67, 0x4f800000, v68
	v_cndmask_b32_e32 v67, v68, v67, vcc_lo
	s_delay_alu instid0(VALU_DEP_1) | instskip(SKIP_2) | instid1(VALU_DEP_1)
	v_sqrt_f32_e32 v68, v67
	s_waitcnt_depctr 0xfff
	v_add_nc_u32_e32 v69, -1, v68
	v_fma_f32 v70, -v69, v68, v67
	s_delay_alu instid0(VALU_DEP_1) | instskip(SKIP_1) | instid1(VALU_DEP_2)
	v_cmp_ge_f32_e64 s6, 0, v70
	v_add_nc_u32_e32 v70, 1, v68
	v_cndmask_b32_e64 v69, v68, v69, s6
	s_delay_alu instid0(VALU_DEP_2) | instskip(NEXT) | instid1(VALU_DEP_1)
	v_fma_f32 v68, -v70, v68, v67
	v_cmp_lt_f32_e64 s6, 0, v68
	s_delay_alu instid0(VALU_DEP_1) | instskip(NEXT) | instid1(VALU_DEP_1)
	v_cndmask_b32_e64 v68, v69, v70, s6
	v_mul_f32_e32 v69, 0x37800000, v68
	s_delay_alu instid0(VALU_DEP_1) | instskip(SKIP_1) | instid1(VALU_DEP_2)
	v_cndmask_b32_e32 v68, v68, v69, vcc_lo
	v_cmp_class_f32_e64 vcc_lo, v67, 0x260
	v_cndmask_b32_e32 v67, v68, v67, vcc_lo
	s_delay_alu instid0(VALU_DEP_1) | instskip(SKIP_1) | instid1(VALU_DEP_2)
	v_sub_f32_e32 v68, v67, v61
	v_fma_f32 v67, -v64, v67, 1.0
	v_cmp_gt_f32_e32 vcc_lo, 0, v68
	v_cmp_lt_f32_e64 s6, v68, v62
	v_cndmask_b32_e64 v69, 0, 0x42980000, vcc_lo
	s_delay_alu instid0(VALU_DEP_1) | instskip(SKIP_1) | instid1(VALU_DEP_4)
	v_fmac_f32_e32 v113, v67, v69
	v_fma_f32 v67, -v63, v68, 1.0
	v_cndmask_b32_e64 v69, 0, 1.0, s6
	v_cmp_lt_f32_e64 s6, v68, v179
	s_delay_alu instid0(VALU_DEP_3) | instskip(NEXT) | instid1(VALU_DEP_2)
	v_cndmask_b32_e64 v67, v67, 1.0, vcc_lo
	s_and_b32 s6, s5, s6
	s_delay_alu instid0(VALU_DEP_1) | instskip(SKIP_1) | instid1(VALU_DEP_2)
	v_mul_f32_e32 v67, v69, v67
	v_sub_f32_e32 v69, v42, v178
	v_mul_f32_e32 v67, v66, v67
	s_delay_alu instid0(VALU_DEP_1) | instskip(NEXT) | instid1(VALU_DEP_1)
	v_cndmask_b32_e64 v67, v67, -|v67|, s23
	v_fmac_f32_e32 v113, 0x42340000, v67
	v_fma_f32 v67, -v65, v68, 1.0
	v_cndmask_b32_e64 v68, 0, 1.0, s6
	s_delay_alu instid0(VALU_DEP_2) | instskip(NEXT) | instid1(VALU_DEP_2)
	v_cndmask_b32_e64 v67, v67, 1.0, vcc_lo
	v_mul_f32_e32 v68, v132, v68
	s_delay_alu instid0(VALU_DEP_1) | instskip(SKIP_1) | instid1(VALU_DEP_2)
	v_dual_fmac_f32 v113, v67, v68 :: v_dual_sub_f32 v68, v41, v177
	v_sub_f32_e32 v67, v40, v176
	v_mul_f32_e32 v68, v68, v68
	s_delay_alu instid0(VALU_DEP_1) | instskip(NEXT) | instid1(VALU_DEP_1)
	v_fmac_f32_e32 v68, v67, v67
	v_fmac_f32_e32 v68, v69, v69
	s_delay_alu instid0(VALU_DEP_1) | instskip(SKIP_1) | instid1(VALU_DEP_1)
	v_cmp_gt_f32_e32 vcc_lo, 0xf800000, v68
	v_mul_f32_e32 v67, 0x4f800000, v68
	v_cndmask_b32_e32 v67, v68, v67, vcc_lo
	s_delay_alu instid0(VALU_DEP_1) | instskip(SKIP_2) | instid1(VALU_DEP_1)
	v_sqrt_f32_e32 v68, v67
	s_waitcnt_depctr 0xfff
	v_add_nc_u32_e32 v69, -1, v68
	v_fma_f32 v70, -v69, v68, v67
	s_delay_alu instid0(VALU_DEP_1) | instskip(SKIP_1) | instid1(VALU_DEP_2)
	v_cmp_ge_f32_e64 s6, 0, v70
	v_add_nc_u32_e32 v70, 1, v68
	v_cndmask_b32_e64 v69, v68, v69, s6
	s_delay_alu instid0(VALU_DEP_2) | instskip(NEXT) | instid1(VALU_DEP_1)
	v_fma_f32 v68, -v70, v68, v67
	v_cmp_lt_f32_e64 s6, 0, v68
	s_delay_alu instid0(VALU_DEP_1) | instskip(NEXT) | instid1(VALU_DEP_1)
	v_cndmask_b32_e64 v68, v69, v70, s6
	v_mul_f32_e32 v69, 0x37800000, v68
	s_delay_alu instid0(VALU_DEP_1) | instskip(SKIP_1) | instid1(VALU_DEP_2)
	v_cndmask_b32_e32 v68, v68, v69, vcc_lo
	v_cmp_class_f32_e64 vcc_lo, v67, 0x260
	v_cndmask_b32_e32 v67, v68, v67, vcc_lo
	s_delay_alu instid0(VALU_DEP_1) | instskip(SKIP_1) | instid1(VALU_DEP_2)
	v_sub_f32_e32 v68, v67, v61
	v_fma_f32 v67, -v64, v67, 1.0
	v_cmp_gt_f32_e32 vcc_lo, 0, v68
	v_cmp_lt_f32_e64 s6, v68, v62
	v_cndmask_b32_e64 v69, 0, 0x42980000, vcc_lo
	s_delay_alu instid0(VALU_DEP_1) | instskip(SKIP_1) | instid1(VALU_DEP_4)
	v_fmac_f32_e32 v114, v67, v69
	v_fma_f32 v67, -v63, v68, 1.0
	v_cndmask_b32_e64 v69, 0, 1.0, s6
	v_cmp_lt_f32_e64 s6, v68, v179
	s_delay_alu instid0(VALU_DEP_3) | instskip(NEXT) | instid1(VALU_DEP_2)
	v_cndmask_b32_e64 v67, v67, 1.0, vcc_lo
	s_and_b32 s6, s5, s6
	s_delay_alu instid0(VALU_DEP_1) | instskip(SKIP_1) | instid1(VALU_DEP_2)
	v_mul_f32_e32 v67, v69, v67
	v_sub_f32_e32 v69, v45, v178
	v_mul_f32_e32 v67, v66, v67
	s_delay_alu instid0(VALU_DEP_1) | instskip(NEXT) | instid1(VALU_DEP_1)
	v_cndmask_b32_e64 v67, v67, -|v67|, s23
	v_fmac_f32_e32 v114, 0x42340000, v67
	v_fma_f32 v67, -v65, v68, 1.0
	v_cndmask_b32_e64 v68, 0, 1.0, s6
	s_delay_alu instid0(VALU_DEP_2) | instskip(NEXT) | instid1(VALU_DEP_2)
	v_cndmask_b32_e64 v67, v67, 1.0, vcc_lo
	v_mul_f32_e32 v68, v132, v68
	s_delay_alu instid0(VALU_DEP_1) | instskip(SKIP_1) | instid1(VALU_DEP_1)
	v_fmac_f32_e32 v114, v67, v68
	v_dual_sub_f32 v68, v44, v177 :: v_dual_sub_f32 v67, v43, v176
	v_mul_f32_e32 v68, v68, v68
	s_delay_alu instid0(VALU_DEP_1) | instskip(NEXT) | instid1(VALU_DEP_1)
	v_fmac_f32_e32 v68, v67, v67
	v_fmac_f32_e32 v68, v69, v69
	s_delay_alu instid0(VALU_DEP_1) | instskip(SKIP_1) | instid1(VALU_DEP_1)
	v_cmp_gt_f32_e32 vcc_lo, 0xf800000, v68
	v_mul_f32_e32 v67, 0x4f800000, v68
	v_cndmask_b32_e32 v67, v68, v67, vcc_lo
	s_delay_alu instid0(VALU_DEP_1) | instskip(SKIP_2) | instid1(VALU_DEP_1)
	v_sqrt_f32_e32 v68, v67
	s_waitcnt_depctr 0xfff
	v_add_nc_u32_e32 v69, -1, v68
	v_fma_f32 v70, -v69, v68, v67
	s_delay_alu instid0(VALU_DEP_1) | instskip(SKIP_1) | instid1(VALU_DEP_2)
	v_cmp_ge_f32_e64 s6, 0, v70
	v_add_nc_u32_e32 v70, 1, v68
	v_cndmask_b32_e64 v69, v68, v69, s6
	s_delay_alu instid0(VALU_DEP_2) | instskip(NEXT) | instid1(VALU_DEP_1)
	v_fma_f32 v68, -v70, v68, v67
	v_cmp_lt_f32_e64 s6, 0, v68
	s_delay_alu instid0(VALU_DEP_1) | instskip(NEXT) | instid1(VALU_DEP_1)
	v_cndmask_b32_e64 v68, v69, v70, s6
	v_mul_f32_e32 v69, 0x37800000, v68
	s_delay_alu instid0(VALU_DEP_1) | instskip(SKIP_1) | instid1(VALU_DEP_2)
	v_cndmask_b32_e32 v68, v68, v69, vcc_lo
	v_cmp_class_f32_e64 vcc_lo, v67, 0x260
	v_cndmask_b32_e32 v67, v68, v67, vcc_lo
	s_delay_alu instid0(VALU_DEP_1) | instskip(SKIP_1) | instid1(VALU_DEP_2)
	v_sub_f32_e32 v68, v67, v61
	v_fma_f32 v67, -v64, v67, 1.0
	v_cmp_gt_f32_e32 vcc_lo, 0, v68
	v_cmp_lt_f32_e64 s6, v68, v62
	v_cndmask_b32_e64 v69, 0, 0x42980000, vcc_lo
	s_delay_alu instid0(VALU_DEP_1) | instskip(SKIP_1) | instid1(VALU_DEP_4)
	v_fmac_f32_e32 v115, v67, v69
	v_fma_f32 v67, -v63, v68, 1.0
	v_cndmask_b32_e64 v69, 0, 1.0, s6
	v_cmp_lt_f32_e64 s6, v68, v179
	s_delay_alu instid0(VALU_DEP_3) | instskip(NEXT) | instid1(VALU_DEP_2)
	v_cndmask_b32_e64 v67, v67, 1.0, vcc_lo
	s_and_b32 s6, s5, s6
	s_delay_alu instid0(VALU_DEP_1) | instskip(SKIP_1) | instid1(VALU_DEP_2)
	v_mul_f32_e32 v67, v69, v67
	v_sub_f32_e32 v69, v48, v178
	v_mul_f32_e32 v67, v66, v67
	s_delay_alu instid0(VALU_DEP_1) | instskip(NEXT) | instid1(VALU_DEP_1)
	v_cndmask_b32_e64 v67, v67, -|v67|, s23
	v_fmac_f32_e32 v115, 0x42340000, v67
	v_fma_f32 v67, -v65, v68, 1.0
	v_cndmask_b32_e64 v68, 0, 1.0, s6
	s_delay_alu instid0(VALU_DEP_2) | instskip(NEXT) | instid1(VALU_DEP_2)
	v_cndmask_b32_e64 v67, v67, 1.0, vcc_lo
	v_mul_f32_e32 v68, v132, v68
	s_delay_alu instid0(VALU_DEP_1) | instskip(SKIP_1) | instid1(VALU_DEP_1)
	v_fmac_f32_e32 v115, v67, v68
	v_dual_sub_f32 v68, v47, v177 :: v_dual_sub_f32 v67, v46, v176
	;; [unrolled: 56-line block ×3, first 2 shown]
	v_mul_f32_e32 v68, v68, v68
	s_delay_alu instid0(VALU_DEP_1) | instskip(NEXT) | instid1(VALU_DEP_1)
	v_fmac_f32_e32 v68, v67, v67
	v_fmac_f32_e32 v68, v69, v69
	s_delay_alu instid0(VALU_DEP_1) | instskip(SKIP_1) | instid1(VALU_DEP_1)
	v_cmp_gt_f32_e32 vcc_lo, 0xf800000, v68
	v_mul_f32_e32 v67, 0x4f800000, v68
	v_cndmask_b32_e32 v67, v68, v67, vcc_lo
	s_delay_alu instid0(VALU_DEP_1) | instskip(SKIP_2) | instid1(VALU_DEP_1)
	v_sqrt_f32_e32 v68, v67
	s_waitcnt_depctr 0xfff
	v_add_nc_u32_e32 v69, -1, v68
	v_fma_f32 v70, -v69, v68, v67
	s_delay_alu instid0(VALU_DEP_1) | instskip(SKIP_1) | instid1(VALU_DEP_2)
	v_cmp_ge_f32_e64 s6, 0, v70
	v_add_nc_u32_e32 v70, 1, v68
	v_cndmask_b32_e64 v69, v68, v69, s6
	s_delay_alu instid0(VALU_DEP_2) | instskip(NEXT) | instid1(VALU_DEP_1)
	v_fma_f32 v68, -v70, v68, v67
	v_cmp_lt_f32_e64 s6, 0, v68
	s_delay_alu instid0(VALU_DEP_1) | instskip(NEXT) | instid1(VALU_DEP_1)
	v_cndmask_b32_e64 v68, v69, v70, s6
	v_mul_f32_e32 v69, 0x37800000, v68
	s_delay_alu instid0(VALU_DEP_1) | instskip(SKIP_1) | instid1(VALU_DEP_2)
	v_cndmask_b32_e32 v68, v68, v69, vcc_lo
	v_cmp_class_f32_e64 vcc_lo, v67, 0x260
	v_cndmask_b32_e32 v67, v68, v67, vcc_lo
	s_delay_alu instid0(VALU_DEP_1) | instskip(SKIP_1) | instid1(VALU_DEP_2)
	v_sub_f32_e32 v68, v67, v61
	v_fma_f32 v67, -v64, v67, 1.0
	v_cmp_gt_f32_e32 vcc_lo, 0, v68
	v_cmp_lt_f32_e64 s6, v68, v62
	v_cndmask_b32_e64 v69, 0, 0x42980000, vcc_lo
	s_delay_alu instid0(VALU_DEP_1) | instskip(SKIP_1) | instid1(VALU_DEP_4)
	v_fmac_f32_e32 v109, v67, v69
	v_fma_f32 v67, -v63, v68, 1.0
	v_cndmask_b32_e64 v69, 0, 1.0, s6
	v_cmp_lt_f32_e64 s6, v68, v179
	s_delay_alu instid0(VALU_DEP_3) | instskip(NEXT) | instid1(VALU_DEP_2)
	v_cndmask_b32_e64 v67, v67, 1.0, vcc_lo
	s_and_b32 s6, s5, s6
	s_delay_alu instid0(VALU_DEP_1) | instskip(SKIP_1) | instid1(VALU_DEP_2)
	v_mul_f32_e32 v67, v69, v67
	v_sub_f32_e32 v69, v54, v178
	v_mul_f32_e32 v67, v66, v67
	s_delay_alu instid0(VALU_DEP_1) | instskip(NEXT) | instid1(VALU_DEP_1)
	v_cndmask_b32_e64 v67, v67, -|v67|, s23
	v_fmac_f32_e32 v109, 0x42340000, v67
	v_fma_f32 v67, -v65, v68, 1.0
	v_cndmask_b32_e64 v68, 0, 1.0, s6
	s_delay_alu instid0(VALU_DEP_2) | instskip(NEXT) | instid1(VALU_DEP_2)
	v_cndmask_b32_e64 v67, v67, 1.0, vcc_lo
	v_mul_f32_e32 v68, v132, v68
	s_delay_alu instid0(VALU_DEP_1) | instskip(SKIP_1) | instid1(VALU_DEP_2)
	v_dual_fmac_f32 v109, v67, v68 :: v_dual_sub_f32 v68, v53, v177
	v_sub_f32_e32 v67, v52, v176
	v_mul_f32_e32 v68, v68, v68
	s_delay_alu instid0(VALU_DEP_1) | instskip(NEXT) | instid1(VALU_DEP_1)
	v_fmac_f32_e32 v68, v67, v67
	v_fmac_f32_e32 v68, v69, v69
	s_delay_alu instid0(VALU_DEP_1) | instskip(SKIP_1) | instid1(VALU_DEP_1)
	v_cmp_gt_f32_e32 vcc_lo, 0xf800000, v68
	v_mul_f32_e32 v67, 0x4f800000, v68
	v_cndmask_b32_e32 v67, v68, v67, vcc_lo
	s_delay_alu instid0(VALU_DEP_1) | instskip(SKIP_2) | instid1(VALU_DEP_1)
	v_sqrt_f32_e32 v68, v67
	s_waitcnt_depctr 0xfff
	v_add_nc_u32_e32 v69, -1, v68
	v_fma_f32 v70, -v69, v68, v67
	s_delay_alu instid0(VALU_DEP_1) | instskip(SKIP_1) | instid1(VALU_DEP_2)
	v_cmp_ge_f32_e64 s6, 0, v70
	v_add_nc_u32_e32 v70, 1, v68
	v_cndmask_b32_e64 v69, v68, v69, s6
	s_delay_alu instid0(VALU_DEP_2) | instskip(NEXT) | instid1(VALU_DEP_1)
	v_fma_f32 v68, -v70, v68, v67
	v_cmp_lt_f32_e64 s6, 0, v68
	s_delay_alu instid0(VALU_DEP_1) | instskip(NEXT) | instid1(VALU_DEP_1)
	v_cndmask_b32_e64 v68, v69, v70, s6
	v_mul_f32_e32 v69, 0x37800000, v68
	s_delay_alu instid0(VALU_DEP_1) | instskip(SKIP_1) | instid1(VALU_DEP_2)
	v_cndmask_b32_e32 v68, v68, v69, vcc_lo
	v_cmp_class_f32_e64 vcc_lo, v67, 0x260
	v_cndmask_b32_e32 v67, v68, v67, vcc_lo
	s_delay_alu instid0(VALU_DEP_1) | instskip(SKIP_1) | instid1(VALU_DEP_2)
	v_sub_f32_e32 v68, v67, v61
	v_fma_f32 v67, -v64, v67, 1.0
	v_cmp_gt_f32_e32 vcc_lo, 0, v68
	v_cmp_lt_f32_e64 s6, v68, v62
	v_cndmask_b32_e64 v69, 0, 0x42980000, vcc_lo
	s_delay_alu instid0(VALU_DEP_1) | instskip(SKIP_1) | instid1(VALU_DEP_4)
	v_fmac_f32_e32 v110, v67, v69
	v_fma_f32 v67, -v63, v68, 1.0
	v_cndmask_b32_e64 v69, 0, 1.0, s6
	v_cmp_lt_f32_e64 s6, v68, v179
	s_delay_alu instid0(VALU_DEP_3) | instskip(NEXT) | instid1(VALU_DEP_2)
	v_cndmask_b32_e64 v67, v67, 1.0, vcc_lo
	s_and_b32 s6, s5, s6
	s_delay_alu instid0(VALU_DEP_1) | instskip(SKIP_1) | instid1(VALU_DEP_2)
	v_mul_f32_e32 v67, v69, v67
	v_sub_f32_e32 v69, v57, v178
	v_mul_f32_e32 v67, v66, v67
	s_delay_alu instid0(VALU_DEP_1) | instskip(NEXT) | instid1(VALU_DEP_1)
	v_cndmask_b32_e64 v67, v67, -|v67|, s23
	v_fmac_f32_e32 v110, 0x42340000, v67
	v_fma_f32 v67, -v65, v68, 1.0
	v_cndmask_b32_e64 v68, 0, 1.0, s6
	s_delay_alu instid0(VALU_DEP_2) | instskip(NEXT) | instid1(VALU_DEP_2)
	v_cndmask_b32_e64 v67, v67, 1.0, vcc_lo
	v_mul_f32_e32 v68, v132, v68
	s_delay_alu instid0(VALU_DEP_1) | instskip(SKIP_1) | instid1(VALU_DEP_1)
	v_fmac_f32_e32 v110, v67, v68
	v_dual_sub_f32 v68, v56, v177 :: v_dual_sub_f32 v67, v55, v176
	v_mul_f32_e32 v68, v68, v68
	s_delay_alu instid0(VALU_DEP_1) | instskip(NEXT) | instid1(VALU_DEP_1)
	v_fmac_f32_e32 v68, v67, v67
	v_fmac_f32_e32 v68, v69, v69
	s_delay_alu instid0(VALU_DEP_1) | instskip(SKIP_1) | instid1(VALU_DEP_1)
	v_cmp_gt_f32_e32 vcc_lo, 0xf800000, v68
	v_mul_f32_e32 v67, 0x4f800000, v68
	v_cndmask_b32_e32 v67, v68, v67, vcc_lo
	s_delay_alu instid0(VALU_DEP_1) | instskip(SKIP_2) | instid1(VALU_DEP_1)
	v_sqrt_f32_e32 v68, v67
	s_waitcnt_depctr 0xfff
	v_add_nc_u32_e32 v69, -1, v68
	v_fma_f32 v70, -v69, v68, v67
	s_delay_alu instid0(VALU_DEP_1) | instskip(SKIP_1) | instid1(VALU_DEP_2)
	v_cmp_ge_f32_e64 s6, 0, v70
	v_add_nc_u32_e32 v70, 1, v68
	v_cndmask_b32_e64 v69, v68, v69, s6
	s_delay_alu instid0(VALU_DEP_2) | instskip(NEXT) | instid1(VALU_DEP_1)
	v_fma_f32 v68, -v70, v68, v67
	v_cmp_lt_f32_e64 s6, 0, v68
	s_delay_alu instid0(VALU_DEP_1) | instskip(NEXT) | instid1(VALU_DEP_1)
	v_cndmask_b32_e64 v68, v69, v70, s6
	v_mul_f32_e32 v69, 0x37800000, v68
	s_delay_alu instid0(VALU_DEP_1) | instskip(SKIP_1) | instid1(VALU_DEP_2)
	v_cndmask_b32_e32 v68, v68, v69, vcc_lo
	v_cmp_class_f32_e64 vcc_lo, v67, 0x260
	v_cndmask_b32_e32 v67, v68, v67, vcc_lo
	s_delay_alu instid0(VALU_DEP_1) | instskip(SKIP_1) | instid1(VALU_DEP_2)
	v_sub_f32_e32 v68, v67, v61
	v_fma_f32 v67, -v64, v67, 1.0
	v_cmp_gt_f32_e32 vcc_lo, 0, v68
	v_cmp_lt_f32_e64 s6, v68, v62
	v_cndmask_b32_e64 v69, 0, 0x42980000, vcc_lo
	s_delay_alu instid0(VALU_DEP_1) | instskip(SKIP_1) | instid1(VALU_DEP_4)
	v_fmac_f32_e32 v111, v67, v69
	v_fma_f32 v67, -v63, v68, 1.0
	v_cndmask_b32_e64 v69, 0, 1.0, s6
	v_cmp_lt_f32_e64 s6, v68, v179
	s_delay_alu instid0(VALU_DEP_3) | instskip(NEXT) | instid1(VALU_DEP_2)
	v_cndmask_b32_e64 v67, v67, 1.0, vcc_lo
	s_and_b32 s6, s5, s6
	s_delay_alu instid0(VALU_DEP_1) | instskip(SKIP_1) | instid1(VALU_DEP_2)
	v_mul_f32_e32 v67, v69, v67
	v_sub_f32_e32 v69, v60, v178
	v_mul_f32_e32 v67, v66, v67
	s_delay_alu instid0(VALU_DEP_1) | instskip(NEXT) | instid1(VALU_DEP_1)
	v_cndmask_b32_e64 v67, v67, -|v67|, s23
	v_fmac_f32_e32 v111, 0x42340000, v67
	v_fma_f32 v67, -v65, v68, 1.0
	v_cndmask_b32_e64 v68, 0, 1.0, s6
	s_delay_alu instid0(VALU_DEP_2) | instskip(NEXT) | instid1(VALU_DEP_2)
	v_cndmask_b32_e64 v67, v67, 1.0, vcc_lo
	v_mul_f32_e32 v68, v132, v68
	s_delay_alu instid0(VALU_DEP_1) | instskip(SKIP_1) | instid1(VALU_DEP_1)
	v_fmac_f32_e32 v111, v67, v68
	v_dual_sub_f32 v68, v59, v177 :: v_dual_sub_f32 v67, v58, v176
	v_mul_f32_e32 v68, v68, v68
	s_delay_alu instid0(VALU_DEP_1) | instskip(NEXT) | instid1(VALU_DEP_1)
	v_fmac_f32_e32 v68, v67, v67
	v_fmac_f32_e32 v68, v69, v69
	s_delay_alu instid0(VALU_DEP_1) | instskip(SKIP_1) | instid1(VALU_DEP_1)
	v_cmp_gt_f32_e32 vcc_lo, 0xf800000, v68
	v_mul_f32_e32 v67, 0x4f800000, v68
	v_cndmask_b32_e32 v67, v68, v67, vcc_lo
	s_delay_alu instid0(VALU_DEP_1) | instskip(SKIP_2) | instid1(VALU_DEP_1)
	v_sqrt_f32_e32 v68, v67
	s_waitcnt_depctr 0xfff
	v_add_nc_u32_e32 v69, -1, v68
	v_fma_f32 v70, -v69, v68, v67
	s_delay_alu instid0(VALU_DEP_1) | instskip(SKIP_1) | instid1(VALU_DEP_2)
	v_cmp_ge_f32_e64 s6, 0, v70
	v_add_nc_u32_e32 v70, 1, v68
	v_cndmask_b32_e64 v69, v68, v69, s6
	s_delay_alu instid0(VALU_DEP_2) | instskip(NEXT) | instid1(VALU_DEP_1)
	v_fma_f32 v68, -v70, v68, v67
	v_cmp_lt_f32_e64 s6, 0, v68
	s_delay_alu instid0(VALU_DEP_1) | instskip(NEXT) | instid1(VALU_DEP_1)
	v_cndmask_b32_e64 v68, v69, v70, s6
	v_mul_f32_e32 v69, 0x37800000, v68
	s_delay_alu instid0(VALU_DEP_1) | instskip(SKIP_1) | instid1(VALU_DEP_2)
	v_cndmask_b32_e32 v68, v68, v69, vcc_lo
	v_cmp_class_f32_e64 vcc_lo, v67, 0x260
	v_cndmask_b32_e32 v67, v68, v67, vcc_lo
	s_delay_alu instid0(VALU_DEP_1) | instskip(SKIP_1) | instid1(VALU_DEP_2)
	v_sub_f32_e32 v68, v67, v61
	v_fma_f32 v67, -v64, v67, 1.0
	v_cmp_gt_f32_e32 vcc_lo, 0, v68
	v_cmp_lt_f32_e64 s6, v68, v62
	v_cndmask_b32_e64 v69, 0, 0x42980000, vcc_lo
	s_delay_alu instid0(VALU_DEP_1) | instskip(SKIP_1) | instid1(VALU_DEP_4)
	v_fmac_f32_e32 v172, v67, v69
	v_fma_f32 v67, -v63, v68, 1.0
	v_cndmask_b32_e64 v69, 0, 1.0, s6
	v_cmp_lt_f32_e64 s6, v68, v179
	s_delay_alu instid0(VALU_DEP_3) | instskip(NEXT) | instid1(VALU_DEP_2)
	v_cndmask_b32_e64 v67, v67, 1.0, vcc_lo
	s_and_b32 s6, s5, s6
	s_delay_alu instid0(VALU_DEP_1) | instskip(SKIP_2) | instid1(VALU_DEP_1)
	v_mul_f32_e32 v67, v69, v67
	scratch_load_b32 v69, off, off offset:3352 ; 4-byte Folded Reload
	v_mul_f32_e32 v67, v66, v67
	v_cndmask_b32_e64 v67, v67, -|v67|, s23
	s_delay_alu instid0(VALU_DEP_1) | instskip(SKIP_2) | instid1(VALU_DEP_2)
	v_fmac_f32_e32 v172, 0x42340000, v67
	v_fma_f32 v67, -v65, v68, 1.0
	v_cndmask_b32_e64 v68, 0, 1.0, s6
	v_cndmask_b32_e64 v67, v67, 1.0, vcc_lo
	s_delay_alu instid0(VALU_DEP_2) | instskip(NEXT) | instid1(VALU_DEP_1)
	v_mul_f32_e32 v68, v132, v68
	v_fmac_f32_e32 v172, v67, v68
	s_clause 0x1
	scratch_load_b32 v67, off, off offset:3344
	scratch_load_b32 v68, off, off offset:3348
	s_waitcnt vmcnt(2)
	v_sub_f32_e32 v69, v69, v178
	s_waitcnt vmcnt(0)
	v_dual_sub_f32 v67, v67, v176 :: v_dual_sub_f32 v68, v68, v177
	s_delay_alu instid0(VALU_DEP_1) | instskip(NEXT) | instid1(VALU_DEP_1)
	v_mul_f32_e32 v68, v68, v68
	v_fmac_f32_e32 v68, v67, v67
	s_delay_alu instid0(VALU_DEP_1) | instskip(NEXT) | instid1(VALU_DEP_1)
	v_fmac_f32_e32 v68, v69, v69
	v_cmp_gt_f32_e32 vcc_lo, 0xf800000, v68
	v_mul_f32_e32 v67, 0x4f800000, v68
	s_delay_alu instid0(VALU_DEP_1) | instskip(NEXT) | instid1(VALU_DEP_1)
	v_cndmask_b32_e32 v67, v68, v67, vcc_lo
	v_sqrt_f32_e32 v68, v67
	s_waitcnt_depctr 0xfff
	v_add_nc_u32_e32 v69, -1, v68
	s_delay_alu instid0(VALU_DEP_1) | instskip(NEXT) | instid1(VALU_DEP_1)
	v_fma_f32 v70, -v69, v68, v67
	v_cmp_ge_f32_e64 s6, 0, v70
	v_add_nc_u32_e32 v70, 1, v68
	s_delay_alu instid0(VALU_DEP_2) | instskip(NEXT) | instid1(VALU_DEP_2)
	v_cndmask_b32_e64 v69, v68, v69, s6
	v_fma_f32 v68, -v70, v68, v67
	s_delay_alu instid0(VALU_DEP_1) | instskip(NEXT) | instid1(VALU_DEP_1)
	v_cmp_lt_f32_e64 s6, 0, v68
	v_cndmask_b32_e64 v68, v69, v70, s6
	s_delay_alu instid0(VALU_DEP_1) | instskip(NEXT) | instid1(VALU_DEP_1)
	v_mul_f32_e32 v69, 0x37800000, v68
	v_cndmask_b32_e32 v68, v68, v69, vcc_lo
	v_cmp_class_f32_e64 vcc_lo, v67, 0x260
	s_delay_alu instid0(VALU_DEP_2) | instskip(NEXT) | instid1(VALU_DEP_1)
	v_cndmask_b32_e32 v67, v68, v67, vcc_lo
	v_sub_f32_e32 v68, v67, v61
	v_fma_f32 v67, -v64, v67, 1.0
	s_delay_alu instid0(VALU_DEP_2) | instskip(SKIP_2) | instid1(VALU_DEP_1)
	v_cmp_gt_f32_e32 vcc_lo, 0, v68
	v_cmp_lt_f32_e64 s6, v68, v62
	v_cndmask_b32_e64 v69, 0, 0x42980000, vcc_lo
	v_fmac_f32_e32 v173, v67, v69
	v_fma_f32 v67, -v63, v68, 1.0
	s_delay_alu instid0(VALU_DEP_4) | instskip(SKIP_1) | instid1(VALU_DEP_3)
	v_cndmask_b32_e64 v69, 0, 1.0, s6
	v_cmp_lt_f32_e64 s6, v68, v179
	v_cndmask_b32_e64 v67, v67, 1.0, vcc_lo
	s_delay_alu instid0(VALU_DEP_2) | instskip(NEXT) | instid1(VALU_DEP_1)
	s_and_b32 s6, s5, s6
	v_mul_f32_e32 v67, v69, v67
	scratch_load_b32 v69, off, off offset:3364 ; 4-byte Folded Reload
	v_mul_f32_e32 v67, v66, v67
	s_delay_alu instid0(VALU_DEP_1) | instskip(NEXT) | instid1(VALU_DEP_1)
	v_cndmask_b32_e64 v67, v67, -|v67|, s23
	v_fmac_f32_e32 v173, 0x42340000, v67
	v_fma_f32 v67, -v65, v68, 1.0
	v_cndmask_b32_e64 v68, 0, 1.0, s6
	s_delay_alu instid0(VALU_DEP_2) | instskip(NEXT) | instid1(VALU_DEP_2)
	v_cndmask_b32_e64 v67, v67, 1.0, vcc_lo
	v_mul_f32_e32 v68, v132, v68
	s_delay_alu instid0(VALU_DEP_1)
	v_fmac_f32_e32 v173, v67, v68
	s_clause 0x1
	scratch_load_b32 v67, off, off offset:3356
	scratch_load_b32 v68, off, off offset:3360
	s_waitcnt vmcnt(2)
	v_sub_f32_e32 v69, v69, v178
	s_waitcnt vmcnt(0)
	v_dual_sub_f32 v67, v67, v176 :: v_dual_sub_f32 v68, v68, v177
	s_delay_alu instid0(VALU_DEP_1) | instskip(NEXT) | instid1(VALU_DEP_1)
	v_mul_f32_e32 v68, v68, v68
	v_fmac_f32_e32 v68, v67, v67
	s_delay_alu instid0(VALU_DEP_1) | instskip(NEXT) | instid1(VALU_DEP_1)
	v_fmac_f32_e32 v68, v69, v69
	v_cmp_gt_f32_e32 vcc_lo, 0xf800000, v68
	v_mul_f32_e32 v67, 0x4f800000, v68
	s_delay_alu instid0(VALU_DEP_1) | instskip(NEXT) | instid1(VALU_DEP_1)
	v_cndmask_b32_e32 v67, v68, v67, vcc_lo
	v_sqrt_f32_e32 v68, v67
	s_waitcnt_depctr 0xfff
	v_add_nc_u32_e32 v69, -1, v68
	s_delay_alu instid0(VALU_DEP_1) | instskip(NEXT) | instid1(VALU_DEP_1)
	v_fma_f32 v70, -v69, v68, v67
	v_cmp_ge_f32_e64 s6, 0, v70
	v_add_nc_u32_e32 v70, 1, v68
	s_delay_alu instid0(VALU_DEP_2) | instskip(NEXT) | instid1(VALU_DEP_2)
	v_cndmask_b32_e64 v69, v68, v69, s6
	v_fma_f32 v68, -v70, v68, v67
	s_delay_alu instid0(VALU_DEP_1) | instskip(NEXT) | instid1(VALU_DEP_1)
	v_cmp_lt_f32_e64 s6, 0, v68
	v_cndmask_b32_e64 v68, v69, v70, s6
	s_delay_alu instid0(VALU_DEP_1) | instskip(NEXT) | instid1(VALU_DEP_1)
	v_mul_f32_e32 v69, 0x37800000, v68
	v_cndmask_b32_e32 v68, v68, v69, vcc_lo
	v_cmp_class_f32_e64 vcc_lo, v67, 0x260
	s_delay_alu instid0(VALU_DEP_2) | instskip(NEXT) | instid1(VALU_DEP_1)
	v_cndmask_b32_e32 v67, v68, v67, vcc_lo
	v_sub_f32_e32 v68, v67, v61
	v_fma_f32 v67, -v64, v67, 1.0
	s_delay_alu instid0(VALU_DEP_2) | instskip(SKIP_2) | instid1(VALU_DEP_1)
	v_cmp_gt_f32_e32 vcc_lo, 0, v68
	v_cmp_lt_f32_e64 s6, v68, v62
	v_cndmask_b32_e64 v69, 0, 0x42980000, vcc_lo
	v_fmac_f32_e32 v174, v67, v69
	v_fma_f32 v67, -v63, v68, 1.0
	s_delay_alu instid0(VALU_DEP_4) | instskip(SKIP_1) | instid1(VALU_DEP_3)
	v_cndmask_b32_e64 v69, 0, 1.0, s6
	v_cmp_lt_f32_e64 s6, v68, v179
	v_cndmask_b32_e64 v67, v67, 1.0, vcc_lo
	s_delay_alu instid0(VALU_DEP_2) | instskip(NEXT) | instid1(VALU_DEP_1)
	s_and_b32 s6, s5, s6
	v_mul_f32_e32 v67, v69, v67
	scratch_load_b32 v69, off, off offset:3376 ; 4-byte Folded Reload
	v_mul_f32_e32 v67, v66, v67
	s_delay_alu instid0(VALU_DEP_1) | instskip(NEXT) | instid1(VALU_DEP_1)
	v_cndmask_b32_e64 v67, v67, -|v67|, s23
	v_fmac_f32_e32 v174, 0x42340000, v67
	v_fma_f32 v67, -v65, v68, 1.0
	v_cndmask_b32_e64 v68, 0, 1.0, s6
	s_delay_alu instid0(VALU_DEP_2) | instskip(NEXT) | instid1(VALU_DEP_2)
	v_cndmask_b32_e64 v67, v67, 1.0, vcc_lo
	v_mul_f32_e32 v68, v132, v68
	s_delay_alu instid0(VALU_DEP_1)
	v_fmac_f32_e32 v174, v67, v68
	s_clause 0x1
	scratch_load_b32 v67, off, off offset:3368
	scratch_load_b32 v68, off, off offset:3372
	s_waitcnt vmcnt(2)
	v_sub_f32_e32 v69, v69, v178
	s_waitcnt vmcnt(0)
	v_dual_sub_f32 v67, v67, v176 :: v_dual_sub_f32 v68, v68, v177
	s_delay_alu instid0(VALU_DEP_1) | instskip(NEXT) | instid1(VALU_DEP_1)
	v_mul_f32_e32 v68, v68, v68
	v_fmac_f32_e32 v68, v67, v67
	s_delay_alu instid0(VALU_DEP_1) | instskip(NEXT) | instid1(VALU_DEP_1)
	v_fmac_f32_e32 v68, v69, v69
	v_cmp_gt_f32_e32 vcc_lo, 0xf800000, v68
	v_mul_f32_e32 v67, 0x4f800000, v68
	s_delay_alu instid0(VALU_DEP_1) | instskip(NEXT) | instid1(VALU_DEP_1)
	v_cndmask_b32_e32 v67, v68, v67, vcc_lo
	v_sqrt_f32_e32 v68, v67
	s_waitcnt_depctr 0xfff
	v_add_nc_u32_e32 v69, -1, v68
	s_delay_alu instid0(VALU_DEP_1) | instskip(NEXT) | instid1(VALU_DEP_1)
	v_fma_f32 v70, -v69, v68, v67
	v_cmp_ge_f32_e64 s6, 0, v70
	v_add_nc_u32_e32 v70, 1, v68
	s_delay_alu instid0(VALU_DEP_2) | instskip(NEXT) | instid1(VALU_DEP_2)
	v_cndmask_b32_e64 v69, v68, v69, s6
	v_fma_f32 v68, -v70, v68, v67
	s_delay_alu instid0(VALU_DEP_1) | instskip(NEXT) | instid1(VALU_DEP_1)
	v_cmp_lt_f32_e64 s6, 0, v68
	v_cndmask_b32_e64 v68, v69, v70, s6
	s_delay_alu instid0(VALU_DEP_1) | instskip(NEXT) | instid1(VALU_DEP_1)
	v_mul_f32_e32 v69, 0x37800000, v68
	v_cndmask_b32_e32 v68, v68, v69, vcc_lo
	v_cmp_class_f32_e64 vcc_lo, v67, 0x260
	s_delay_alu instid0(VALU_DEP_2) | instskip(NEXT) | instid1(VALU_DEP_1)
	v_cndmask_b32_e32 v67, v68, v67, vcc_lo
	v_sub_f32_e32 v68, v67, v61
	v_fma_f32 v67, -v64, v67, 1.0
	s_delay_alu instid0(VALU_DEP_2) | instskip(SKIP_2) | instid1(VALU_DEP_1)
	v_cmp_gt_f32_e32 vcc_lo, 0, v68
	v_cmp_lt_f32_e64 s6, v68, v62
	v_cndmask_b32_e64 v69, 0, 0x42980000, vcc_lo
	v_fmac_f32_e32 v175, v67, v69
	v_fma_f32 v67, -v63, v68, 1.0
	s_delay_alu instid0(VALU_DEP_4) | instskip(SKIP_1) | instid1(VALU_DEP_3)
	v_cndmask_b32_e64 v69, 0, 1.0, s6
	v_cmp_lt_f32_e64 s6, v68, v179
	v_cndmask_b32_e64 v67, v67, 1.0, vcc_lo
	s_delay_alu instid0(VALU_DEP_2) | instskip(NEXT) | instid1(VALU_DEP_1)
	s_and_b32 s6, s5, s6
	v_mul_f32_e32 v67, v69, v67
	scratch_load_b32 v69, off, off offset:3388 ; 4-byte Folded Reload
	v_mul_f32_e32 v67, v66, v67
	s_delay_alu instid0(VALU_DEP_1) | instskip(NEXT) | instid1(VALU_DEP_1)
	v_cndmask_b32_e64 v67, v67, -|v67|, s23
	v_fmac_f32_e32 v175, 0x42340000, v67
	v_fma_f32 v67, -v65, v68, 1.0
	v_cndmask_b32_e64 v68, 0, 1.0, s6
	s_delay_alu instid0(VALU_DEP_2) | instskip(NEXT) | instid1(VALU_DEP_2)
	v_cndmask_b32_e64 v67, v67, 1.0, vcc_lo
	v_mul_f32_e32 v68, v132, v68
	s_delay_alu instid0(VALU_DEP_1)
	v_fmac_f32_e32 v175, v67, v68
	s_clause 0x1
	scratch_load_b32 v67, off, off offset:3380
	scratch_load_b32 v68, off, off offset:3384
	s_waitcnt vmcnt(2)
	v_sub_f32_e32 v69, v69, v178
	s_waitcnt vmcnt(0)
	v_dual_sub_f32 v67, v67, v176 :: v_dual_sub_f32 v68, v68, v177
	s_delay_alu instid0(VALU_DEP_1) | instskip(NEXT) | instid1(VALU_DEP_1)
	v_mul_f32_e32 v68, v68, v68
	v_fmac_f32_e32 v68, v67, v67
	s_delay_alu instid0(VALU_DEP_1) | instskip(NEXT) | instid1(VALU_DEP_1)
	v_fmac_f32_e32 v68, v69, v69
	v_cmp_gt_f32_e32 vcc_lo, 0xf800000, v68
	v_mul_f32_e32 v67, 0x4f800000, v68
	s_delay_alu instid0(VALU_DEP_1) | instskip(NEXT) | instid1(VALU_DEP_1)
	v_cndmask_b32_e32 v67, v68, v67, vcc_lo
	v_sqrt_f32_e32 v68, v67
	s_waitcnt_depctr 0xfff
	v_add_nc_u32_e32 v69, -1, v68
	s_delay_alu instid0(VALU_DEP_1) | instskip(NEXT) | instid1(VALU_DEP_1)
	v_fma_f32 v70, -v69, v68, v67
	v_cmp_ge_f32_e64 s6, 0, v70
	v_add_nc_u32_e32 v70, 1, v68
	s_delay_alu instid0(VALU_DEP_2) | instskip(NEXT) | instid1(VALU_DEP_2)
	v_cndmask_b32_e64 v69, v68, v69, s6
	v_fma_f32 v68, -v70, v68, v67
	s_delay_alu instid0(VALU_DEP_1) | instskip(NEXT) | instid1(VALU_DEP_1)
	v_cmp_lt_f32_e64 s6, 0, v68
	v_cndmask_b32_e64 v68, v69, v70, s6
	s_delay_alu instid0(VALU_DEP_1) | instskip(NEXT) | instid1(VALU_DEP_1)
	v_mul_f32_e32 v69, 0x37800000, v68
	v_cndmask_b32_e32 v68, v68, v69, vcc_lo
	v_cmp_class_f32_e64 vcc_lo, v67, 0x260
	s_delay_alu instid0(VALU_DEP_2) | instskip(NEXT) | instid1(VALU_DEP_1)
	v_cndmask_b32_e32 v67, v68, v67, vcc_lo
	v_sub_f32_e32 v68, v67, v61
	v_fma_f32 v67, -v64, v67, 1.0
	s_delay_alu instid0(VALU_DEP_2) | instskip(SKIP_2) | instid1(VALU_DEP_1)
	v_cmp_gt_f32_e32 vcc_lo, 0, v68
	v_cmp_lt_f32_e64 s6, v68, v62
	v_cndmask_b32_e64 v69, 0, 0x42980000, vcc_lo
	v_fmac_f32_e32 v168, v67, v69
	v_fma_f32 v67, -v63, v68, 1.0
	s_delay_alu instid0(VALU_DEP_4) | instskip(SKIP_1) | instid1(VALU_DEP_3)
	v_cndmask_b32_e64 v69, 0, 1.0, s6
	v_cmp_lt_f32_e64 s6, v68, v179
	v_cndmask_b32_e64 v67, v67, 1.0, vcc_lo
	s_delay_alu instid0(VALU_DEP_2) | instskip(NEXT) | instid1(VALU_DEP_1)
	s_and_b32 s6, s5, s6
	v_mul_f32_e32 v67, v69, v67
	scratch_load_b32 v69, off, off offset:3400 ; 4-byte Folded Reload
	v_mul_f32_e32 v67, v66, v67
	s_delay_alu instid0(VALU_DEP_1) | instskip(NEXT) | instid1(VALU_DEP_1)
	v_cndmask_b32_e64 v67, v67, -|v67|, s23
	v_fmac_f32_e32 v168, 0x42340000, v67
	v_fma_f32 v67, -v65, v68, 1.0
	v_cndmask_b32_e64 v68, 0, 1.0, s6
	s_delay_alu instid0(VALU_DEP_2) | instskip(NEXT) | instid1(VALU_DEP_2)
	v_cndmask_b32_e64 v67, v67, 1.0, vcc_lo
	v_mul_f32_e32 v68, v132, v68
	s_delay_alu instid0(VALU_DEP_1)
	v_fmac_f32_e32 v168, v67, v68
	s_clause 0x1
	scratch_load_b32 v67, off, off offset:3392
	scratch_load_b32 v68, off, off offset:3396
	s_waitcnt vmcnt(2)
	v_sub_f32_e32 v69, v69, v178
	s_waitcnt vmcnt(0)
	v_dual_sub_f32 v67, v67, v176 :: v_dual_sub_f32 v68, v68, v177
	s_delay_alu instid0(VALU_DEP_1) | instskip(NEXT) | instid1(VALU_DEP_1)
	v_mul_f32_e32 v68, v68, v68
	v_fmac_f32_e32 v68, v67, v67
	s_delay_alu instid0(VALU_DEP_1) | instskip(NEXT) | instid1(VALU_DEP_1)
	v_fmac_f32_e32 v68, v69, v69
	v_cmp_gt_f32_e32 vcc_lo, 0xf800000, v68
	v_mul_f32_e32 v67, 0x4f800000, v68
	s_delay_alu instid0(VALU_DEP_1) | instskip(NEXT) | instid1(VALU_DEP_1)
	v_cndmask_b32_e32 v67, v68, v67, vcc_lo
	v_sqrt_f32_e32 v68, v67
	s_waitcnt_depctr 0xfff
	v_add_nc_u32_e32 v69, -1, v68
	s_delay_alu instid0(VALU_DEP_1) | instskip(NEXT) | instid1(VALU_DEP_1)
	v_fma_f32 v70, -v69, v68, v67
	v_cmp_ge_f32_e64 s6, 0, v70
	v_add_nc_u32_e32 v70, 1, v68
	s_delay_alu instid0(VALU_DEP_2) | instskip(NEXT) | instid1(VALU_DEP_2)
	v_cndmask_b32_e64 v69, v68, v69, s6
	v_fma_f32 v68, -v70, v68, v67
	s_delay_alu instid0(VALU_DEP_1) | instskip(NEXT) | instid1(VALU_DEP_1)
	v_cmp_lt_f32_e64 s6, 0, v68
	v_cndmask_b32_e64 v68, v69, v70, s6
	s_delay_alu instid0(VALU_DEP_1) | instskip(NEXT) | instid1(VALU_DEP_1)
	v_mul_f32_e32 v69, 0x37800000, v68
	v_cndmask_b32_e32 v68, v68, v69, vcc_lo
	v_cmp_class_f32_e64 vcc_lo, v67, 0x260
	s_delay_alu instid0(VALU_DEP_2) | instskip(NEXT) | instid1(VALU_DEP_1)
	v_cndmask_b32_e32 v67, v68, v67, vcc_lo
	v_sub_f32_e32 v68, v67, v61
	v_fma_f32 v67, -v64, v67, 1.0
	s_delay_alu instid0(VALU_DEP_2) | instskip(SKIP_2) | instid1(VALU_DEP_1)
	v_cmp_gt_f32_e32 vcc_lo, 0, v68
	v_cmp_lt_f32_e64 s6, v68, v62
	v_cndmask_b32_e64 v69, 0, 0x42980000, vcc_lo
	v_fmac_f32_e32 v169, v67, v69
	v_fma_f32 v67, -v63, v68, 1.0
	s_delay_alu instid0(VALU_DEP_4) | instskip(SKIP_1) | instid1(VALU_DEP_3)
	v_cndmask_b32_e64 v69, 0, 1.0, s6
	v_cmp_lt_f32_e64 s6, v68, v179
	v_cndmask_b32_e64 v67, v67, 1.0, vcc_lo
	s_delay_alu instid0(VALU_DEP_2) | instskip(NEXT) | instid1(VALU_DEP_1)
	s_and_b32 s6, s5, s6
	v_mul_f32_e32 v67, v69, v67
	scratch_load_b32 v69, off, off offset:3412 ; 4-byte Folded Reload
	v_mul_f32_e32 v67, v66, v67
	s_delay_alu instid0(VALU_DEP_1) | instskip(NEXT) | instid1(VALU_DEP_1)
	v_cndmask_b32_e64 v67, v67, -|v67|, s23
	v_fmac_f32_e32 v169, 0x42340000, v67
	v_fma_f32 v67, -v65, v68, 1.0
	v_cndmask_b32_e64 v68, 0, 1.0, s6
	s_delay_alu instid0(VALU_DEP_2) | instskip(NEXT) | instid1(VALU_DEP_2)
	v_cndmask_b32_e64 v67, v67, 1.0, vcc_lo
	v_mul_f32_e32 v68, v132, v68
	s_delay_alu instid0(VALU_DEP_1)
	v_fmac_f32_e32 v169, v67, v68
	s_clause 0x1
	scratch_load_b32 v67, off, off offset:3404
	scratch_load_b32 v68, off, off offset:3408
	s_waitcnt vmcnt(2)
	v_sub_f32_e32 v69, v69, v178
	s_waitcnt vmcnt(0)
	v_dual_sub_f32 v67, v67, v176 :: v_dual_sub_f32 v68, v68, v177
	s_delay_alu instid0(VALU_DEP_1) | instskip(NEXT) | instid1(VALU_DEP_1)
	v_mul_f32_e32 v68, v68, v68
	v_fmac_f32_e32 v68, v67, v67
	s_delay_alu instid0(VALU_DEP_1) | instskip(NEXT) | instid1(VALU_DEP_1)
	v_fmac_f32_e32 v68, v69, v69
	v_cmp_gt_f32_e32 vcc_lo, 0xf800000, v68
	v_mul_f32_e32 v67, 0x4f800000, v68
	s_delay_alu instid0(VALU_DEP_1) | instskip(NEXT) | instid1(VALU_DEP_1)
	v_cndmask_b32_e32 v67, v68, v67, vcc_lo
	v_sqrt_f32_e32 v68, v67
	s_waitcnt_depctr 0xfff
	v_add_nc_u32_e32 v69, -1, v68
	s_delay_alu instid0(VALU_DEP_1) | instskip(NEXT) | instid1(VALU_DEP_1)
	v_fma_f32 v70, -v69, v68, v67
	v_cmp_ge_f32_e64 s6, 0, v70
	v_add_nc_u32_e32 v70, 1, v68
	s_delay_alu instid0(VALU_DEP_2) | instskip(NEXT) | instid1(VALU_DEP_2)
	v_cndmask_b32_e64 v69, v68, v69, s6
	v_fma_f32 v68, -v70, v68, v67
	s_delay_alu instid0(VALU_DEP_1) | instskip(NEXT) | instid1(VALU_DEP_1)
	v_cmp_lt_f32_e64 s6, 0, v68
	v_cndmask_b32_e64 v68, v69, v70, s6
	s_delay_alu instid0(VALU_DEP_1) | instskip(NEXT) | instid1(VALU_DEP_1)
	v_mul_f32_e32 v69, 0x37800000, v68
	v_cndmask_b32_e32 v68, v68, v69, vcc_lo
	v_cmp_class_f32_e64 vcc_lo, v67, 0x260
	s_delay_alu instid0(VALU_DEP_2) | instskip(NEXT) | instid1(VALU_DEP_1)
	v_cndmask_b32_e32 v67, v68, v67, vcc_lo
	v_sub_f32_e32 v68, v67, v61
	v_fma_f32 v67, -v64, v67, 1.0
	s_delay_alu instid0(VALU_DEP_2) | instskip(SKIP_2) | instid1(VALU_DEP_1)
	v_cmp_gt_f32_e32 vcc_lo, 0, v68
	v_cmp_lt_f32_e64 s6, v68, v62
	v_cndmask_b32_e64 v69, 0, 0x42980000, vcc_lo
	v_fmac_f32_e32 v170, v67, v69
	v_fma_f32 v67, -v63, v68, 1.0
	s_delay_alu instid0(VALU_DEP_4) | instskip(SKIP_1) | instid1(VALU_DEP_3)
	v_cndmask_b32_e64 v69, 0, 1.0, s6
	v_cmp_lt_f32_e64 s6, v68, v179
	v_cndmask_b32_e64 v67, v67, 1.0, vcc_lo
	s_delay_alu instid0(VALU_DEP_2) | instskip(NEXT) | instid1(VALU_DEP_1)
	s_and_b32 s6, s5, s6
	v_mul_f32_e32 v67, v69, v67
	scratch_load_b32 v69, off, off offset:3424 ; 4-byte Folded Reload
	v_mul_f32_e32 v67, v66, v67
	s_delay_alu instid0(VALU_DEP_1) | instskip(NEXT) | instid1(VALU_DEP_1)
	v_cndmask_b32_e64 v67, v67, -|v67|, s23
	v_fmac_f32_e32 v170, 0x42340000, v67
	v_fma_f32 v67, -v65, v68, 1.0
	v_cndmask_b32_e64 v68, 0, 1.0, s6
	s_delay_alu instid0(VALU_DEP_2) | instskip(NEXT) | instid1(VALU_DEP_2)
	v_cndmask_b32_e64 v67, v67, 1.0, vcc_lo
	v_mul_f32_e32 v68, v132, v68
	s_delay_alu instid0(VALU_DEP_1)
	v_fmac_f32_e32 v170, v67, v68
	s_clause 0x1
	scratch_load_b32 v67, off, off offset:3416
	scratch_load_b32 v68, off, off offset:3420
	s_waitcnt vmcnt(2)
	v_sub_f32_e32 v69, v69, v178
	s_waitcnt vmcnt(0)
	v_dual_sub_f32 v67, v67, v176 :: v_dual_sub_f32 v68, v68, v177
	s_delay_alu instid0(VALU_DEP_1) | instskip(NEXT) | instid1(VALU_DEP_1)
	v_mul_f32_e32 v68, v68, v68
	v_fmac_f32_e32 v68, v67, v67
	s_delay_alu instid0(VALU_DEP_1) | instskip(NEXT) | instid1(VALU_DEP_1)
	v_fmac_f32_e32 v68, v69, v69
	v_cmp_gt_f32_e32 vcc_lo, 0xf800000, v68
	v_mul_f32_e32 v67, 0x4f800000, v68
	s_delay_alu instid0(VALU_DEP_1) | instskip(NEXT) | instid1(VALU_DEP_1)
	v_cndmask_b32_e32 v67, v68, v67, vcc_lo
	v_sqrt_f32_e32 v68, v67
	s_waitcnt_depctr 0xfff
	v_add_nc_u32_e32 v69, -1, v68
	s_delay_alu instid0(VALU_DEP_1) | instskip(NEXT) | instid1(VALU_DEP_1)
	v_fma_f32 v70, -v69, v68, v67
	v_cmp_ge_f32_e64 s6, 0, v70
	v_add_nc_u32_e32 v70, 1, v68
	s_delay_alu instid0(VALU_DEP_2) | instskip(NEXT) | instid1(VALU_DEP_2)
	v_cndmask_b32_e64 v69, v68, v69, s6
	v_fma_f32 v68, -v70, v68, v67
	s_delay_alu instid0(VALU_DEP_1) | instskip(NEXT) | instid1(VALU_DEP_1)
	v_cmp_lt_f32_e64 s6, 0, v68
	v_cndmask_b32_e64 v68, v69, v70, s6
	s_delay_alu instid0(VALU_DEP_1) | instskip(NEXT) | instid1(VALU_DEP_1)
	v_mul_f32_e32 v69, 0x37800000, v68
	v_cndmask_b32_e32 v68, v68, v69, vcc_lo
	v_cmp_class_f32_e64 vcc_lo, v67, 0x260
	s_delay_alu instid0(VALU_DEP_2) | instskip(NEXT) | instid1(VALU_DEP_1)
	v_cndmask_b32_e32 v67, v68, v67, vcc_lo
	v_sub_f32_e32 v68, v67, v61
	v_fma_f32 v67, -v64, v67, 1.0
	s_delay_alu instid0(VALU_DEP_2) | instskip(SKIP_2) | instid1(VALU_DEP_1)
	v_cmp_gt_f32_e32 vcc_lo, 0, v68
	v_cmp_lt_f32_e64 s6, v68, v62
	v_cndmask_b32_e64 v69, 0, 0x42980000, vcc_lo
	v_fmac_f32_e32 v171, v67, v69
	v_fma_f32 v67, -v63, v68, 1.0
	s_delay_alu instid0(VALU_DEP_4) | instskip(SKIP_1) | instid1(VALU_DEP_3)
	v_cndmask_b32_e64 v69, 0, 1.0, s6
	v_cmp_lt_f32_e64 s6, v68, v179
	v_cndmask_b32_e64 v67, v67, 1.0, vcc_lo
	s_delay_alu instid0(VALU_DEP_2) | instskip(NEXT) | instid1(VALU_DEP_1)
	s_and_b32 s6, s5, s6
	v_mul_f32_e32 v67, v69, v67
	scratch_load_b32 v69, off, off offset:3436 ; 4-byte Folded Reload
	v_mul_f32_e32 v67, v66, v67
	s_delay_alu instid0(VALU_DEP_1) | instskip(NEXT) | instid1(VALU_DEP_1)
	v_cndmask_b32_e64 v67, v67, -|v67|, s23
	v_fmac_f32_e32 v171, 0x42340000, v67
	v_fma_f32 v67, -v65, v68, 1.0
	v_cndmask_b32_e64 v68, 0, 1.0, s6
	s_delay_alu instid0(VALU_DEP_2) | instskip(NEXT) | instid1(VALU_DEP_2)
	v_cndmask_b32_e64 v67, v67, 1.0, vcc_lo
	v_mul_f32_e32 v68, v132, v68
	s_delay_alu instid0(VALU_DEP_1)
	v_fmac_f32_e32 v171, v67, v68
	s_clause 0x1
	scratch_load_b32 v67, off, off offset:3428
	scratch_load_b32 v68, off, off offset:3432
	s_waitcnt vmcnt(2)
	v_sub_f32_e32 v69, v69, v178
	s_waitcnt vmcnt(0)
	v_dual_sub_f32 v67, v67, v176 :: v_dual_sub_f32 v68, v68, v177
	s_delay_alu instid0(VALU_DEP_1) | instskip(NEXT) | instid1(VALU_DEP_1)
	v_mul_f32_e32 v68, v68, v68
	v_fmac_f32_e32 v68, v67, v67
	s_delay_alu instid0(VALU_DEP_1) | instskip(NEXT) | instid1(VALU_DEP_1)
	v_fmac_f32_e32 v68, v69, v69
	v_cmp_gt_f32_e32 vcc_lo, 0xf800000, v68
	v_mul_f32_e32 v67, 0x4f800000, v68
	s_delay_alu instid0(VALU_DEP_1) | instskip(NEXT) | instid1(VALU_DEP_1)
	v_cndmask_b32_e32 v67, v68, v67, vcc_lo
	v_sqrt_f32_e32 v68, v67
	s_waitcnt_depctr 0xfff
	v_add_nc_u32_e32 v69, -1, v68
	s_delay_alu instid0(VALU_DEP_1) | instskip(NEXT) | instid1(VALU_DEP_1)
	v_fma_f32 v70, -v69, v68, v67
	v_cmp_ge_f32_e64 s6, 0, v70
	v_add_nc_u32_e32 v70, 1, v68
	s_delay_alu instid0(VALU_DEP_2) | instskip(NEXT) | instid1(VALU_DEP_2)
	v_cndmask_b32_e64 v69, v68, v69, s6
	v_fma_f32 v68, -v70, v68, v67
	s_delay_alu instid0(VALU_DEP_1) | instskip(NEXT) | instid1(VALU_DEP_1)
	v_cmp_lt_f32_e64 s6, 0, v68
	v_cndmask_b32_e64 v68, v69, v70, s6
	s_delay_alu instid0(VALU_DEP_1) | instskip(NEXT) | instid1(VALU_DEP_1)
	v_mul_f32_e32 v69, 0x37800000, v68
	v_cndmask_b32_e32 v68, v68, v69, vcc_lo
	v_cmp_class_f32_e64 vcc_lo, v67, 0x260
	s_delay_alu instid0(VALU_DEP_2) | instskip(NEXT) | instid1(VALU_DEP_1)
	v_cndmask_b32_e32 v67, v68, v67, vcc_lo
	v_sub_f32_e32 v68, v67, v61
	v_fma_f32 v67, -v64, v67, 1.0
	s_delay_alu instid0(VALU_DEP_2) | instskip(SKIP_2) | instid1(VALU_DEP_1)
	v_cmp_gt_f32_e32 vcc_lo, 0, v68
	v_cmp_lt_f32_e64 s6, v68, v62
	v_cndmask_b32_e64 v69, 0, 0x42980000, vcc_lo
	v_fmac_f32_e32 v164, v67, v69
	v_fma_f32 v67, -v63, v68, 1.0
	s_delay_alu instid0(VALU_DEP_4) | instskip(SKIP_1) | instid1(VALU_DEP_3)
	v_cndmask_b32_e64 v69, 0, 1.0, s6
	v_cmp_lt_f32_e64 s6, v68, v179
	v_cndmask_b32_e64 v67, v67, 1.0, vcc_lo
	s_delay_alu instid0(VALU_DEP_2) | instskip(NEXT) | instid1(VALU_DEP_1)
	s_and_b32 s6, s5, s6
	v_mul_f32_e32 v67, v69, v67
	scratch_load_b32 v69, off, off offset:3448 ; 4-byte Folded Reload
	v_mul_f32_e32 v67, v66, v67
	s_delay_alu instid0(VALU_DEP_1) | instskip(NEXT) | instid1(VALU_DEP_1)
	v_cndmask_b32_e64 v67, v67, -|v67|, s23
	v_fmac_f32_e32 v164, 0x42340000, v67
	v_fma_f32 v67, -v65, v68, 1.0
	v_cndmask_b32_e64 v68, 0, 1.0, s6
	s_delay_alu instid0(VALU_DEP_2) | instskip(NEXT) | instid1(VALU_DEP_2)
	v_cndmask_b32_e64 v67, v67, 1.0, vcc_lo
	v_mul_f32_e32 v68, v132, v68
	s_delay_alu instid0(VALU_DEP_1)
	v_fmac_f32_e32 v164, v67, v68
	s_clause 0x1
	scratch_load_b32 v67, off, off offset:3440
	scratch_load_b32 v68, off, off offset:3444
	s_waitcnt vmcnt(2)
	v_sub_f32_e32 v69, v69, v178
	s_waitcnt vmcnt(0)
	v_dual_sub_f32 v67, v67, v176 :: v_dual_sub_f32 v68, v68, v177
	s_delay_alu instid0(VALU_DEP_1) | instskip(NEXT) | instid1(VALU_DEP_1)
	v_mul_f32_e32 v68, v68, v68
	v_fmac_f32_e32 v68, v67, v67
	s_delay_alu instid0(VALU_DEP_1) | instskip(NEXT) | instid1(VALU_DEP_1)
	v_fmac_f32_e32 v68, v69, v69
	v_cmp_gt_f32_e32 vcc_lo, 0xf800000, v68
	v_mul_f32_e32 v67, 0x4f800000, v68
	s_delay_alu instid0(VALU_DEP_1) | instskip(NEXT) | instid1(VALU_DEP_1)
	v_cndmask_b32_e32 v67, v68, v67, vcc_lo
	v_sqrt_f32_e32 v68, v67
	s_waitcnt_depctr 0xfff
	v_add_nc_u32_e32 v69, -1, v68
	s_delay_alu instid0(VALU_DEP_1) | instskip(NEXT) | instid1(VALU_DEP_1)
	v_fma_f32 v70, -v69, v68, v67
	v_cmp_ge_f32_e64 s6, 0, v70
	v_add_nc_u32_e32 v70, 1, v68
	s_delay_alu instid0(VALU_DEP_2) | instskip(NEXT) | instid1(VALU_DEP_2)
	v_cndmask_b32_e64 v69, v68, v69, s6
	v_fma_f32 v68, -v70, v68, v67
	s_delay_alu instid0(VALU_DEP_1) | instskip(NEXT) | instid1(VALU_DEP_1)
	v_cmp_lt_f32_e64 s6, 0, v68
	v_cndmask_b32_e64 v68, v69, v70, s6
	s_delay_alu instid0(VALU_DEP_1) | instskip(NEXT) | instid1(VALU_DEP_1)
	v_mul_f32_e32 v69, 0x37800000, v68
	v_cndmask_b32_e32 v68, v68, v69, vcc_lo
	v_cmp_class_f32_e64 vcc_lo, v67, 0x260
	s_delay_alu instid0(VALU_DEP_2) | instskip(NEXT) | instid1(VALU_DEP_1)
	v_cndmask_b32_e32 v67, v68, v67, vcc_lo
	v_sub_f32_e32 v68, v67, v61
	v_fma_f32 v67, -v64, v67, 1.0
	s_delay_alu instid0(VALU_DEP_2) | instskip(SKIP_2) | instid1(VALU_DEP_1)
	v_cmp_gt_f32_e32 vcc_lo, 0, v68
	v_cmp_lt_f32_e64 s6, v68, v62
	v_cndmask_b32_e64 v69, 0, 0x42980000, vcc_lo
	v_fmac_f32_e32 v165, v67, v69
	v_fma_f32 v67, -v63, v68, 1.0
	s_delay_alu instid0(VALU_DEP_4) | instskip(SKIP_1) | instid1(VALU_DEP_3)
	v_cndmask_b32_e64 v69, 0, 1.0, s6
	v_cmp_lt_f32_e64 s6, v68, v179
	v_cndmask_b32_e64 v67, v67, 1.0, vcc_lo
	s_delay_alu instid0(VALU_DEP_2) | instskip(NEXT) | instid1(VALU_DEP_1)
	s_and_b32 s6, s5, s6
	v_mul_f32_e32 v67, v69, v67
	scratch_load_b32 v69, off, off offset:3460 ; 4-byte Folded Reload
	v_mul_f32_e32 v67, v66, v67
	s_delay_alu instid0(VALU_DEP_1) | instskip(NEXT) | instid1(VALU_DEP_1)
	v_cndmask_b32_e64 v67, v67, -|v67|, s23
	v_fmac_f32_e32 v165, 0x42340000, v67
	v_fma_f32 v67, -v65, v68, 1.0
	v_cndmask_b32_e64 v68, 0, 1.0, s6
	s_delay_alu instid0(VALU_DEP_2) | instskip(NEXT) | instid1(VALU_DEP_2)
	v_cndmask_b32_e64 v67, v67, 1.0, vcc_lo
	v_mul_f32_e32 v68, v132, v68
	s_delay_alu instid0(VALU_DEP_1)
	v_fmac_f32_e32 v165, v67, v68
	s_clause 0x1
	scratch_load_b32 v67, off, off offset:3452
	scratch_load_b32 v68, off, off offset:3456
	s_waitcnt vmcnt(2)
	v_sub_f32_e32 v69, v69, v178
	s_waitcnt vmcnt(0)
	v_dual_sub_f32 v67, v67, v176 :: v_dual_sub_f32 v68, v68, v177
	s_delay_alu instid0(VALU_DEP_1) | instskip(NEXT) | instid1(VALU_DEP_1)
	v_mul_f32_e32 v68, v68, v68
	v_fmac_f32_e32 v68, v67, v67
	s_delay_alu instid0(VALU_DEP_1) | instskip(NEXT) | instid1(VALU_DEP_1)
	v_fmac_f32_e32 v68, v69, v69
	v_cmp_gt_f32_e32 vcc_lo, 0xf800000, v68
	v_mul_f32_e32 v67, 0x4f800000, v68
	s_delay_alu instid0(VALU_DEP_1) | instskip(NEXT) | instid1(VALU_DEP_1)
	v_cndmask_b32_e32 v67, v68, v67, vcc_lo
	v_sqrt_f32_e32 v68, v67
	s_waitcnt_depctr 0xfff
	v_add_nc_u32_e32 v69, -1, v68
	s_delay_alu instid0(VALU_DEP_1) | instskip(NEXT) | instid1(VALU_DEP_1)
	v_fma_f32 v70, -v69, v68, v67
	v_cmp_ge_f32_e64 s6, 0, v70
	v_add_nc_u32_e32 v70, 1, v68
	s_delay_alu instid0(VALU_DEP_2) | instskip(NEXT) | instid1(VALU_DEP_2)
	v_cndmask_b32_e64 v69, v68, v69, s6
	v_fma_f32 v68, -v70, v68, v67
	s_delay_alu instid0(VALU_DEP_1) | instskip(NEXT) | instid1(VALU_DEP_1)
	v_cmp_lt_f32_e64 s6, 0, v68
	v_cndmask_b32_e64 v68, v69, v70, s6
	s_delay_alu instid0(VALU_DEP_1) | instskip(NEXT) | instid1(VALU_DEP_1)
	v_mul_f32_e32 v69, 0x37800000, v68
	v_cndmask_b32_e32 v68, v68, v69, vcc_lo
	v_cmp_class_f32_e64 vcc_lo, v67, 0x260
	s_delay_alu instid0(VALU_DEP_2) | instskip(NEXT) | instid1(VALU_DEP_1)
	v_cndmask_b32_e32 v67, v68, v67, vcc_lo
	v_sub_f32_e32 v68, v67, v61
	v_fma_f32 v67, -v64, v67, 1.0
	s_delay_alu instid0(VALU_DEP_2) | instskip(SKIP_2) | instid1(VALU_DEP_1)
	v_cmp_gt_f32_e32 vcc_lo, 0, v68
	v_cmp_lt_f32_e64 s6, v68, v62
	v_cndmask_b32_e64 v69, 0, 0x42980000, vcc_lo
	v_fmac_f32_e32 v166, v67, v69
	v_fma_f32 v67, -v63, v68, 1.0
	s_delay_alu instid0(VALU_DEP_4) | instskip(SKIP_1) | instid1(VALU_DEP_3)
	v_cndmask_b32_e64 v69, 0, 1.0, s6
	v_cmp_lt_f32_e64 s6, v68, v179
	v_cndmask_b32_e64 v67, v67, 1.0, vcc_lo
	s_delay_alu instid0(VALU_DEP_2) | instskip(NEXT) | instid1(VALU_DEP_1)
	s_and_b32 s6, s5, s6
	v_mul_f32_e32 v67, v69, v67
	scratch_load_b32 v69, off, off offset:3472 ; 4-byte Folded Reload
	v_mul_f32_e32 v67, v66, v67
	s_delay_alu instid0(VALU_DEP_1) | instskip(NEXT) | instid1(VALU_DEP_1)
	v_cndmask_b32_e64 v67, v67, -|v67|, s23
	v_fmac_f32_e32 v166, 0x42340000, v67
	v_fma_f32 v67, -v65, v68, 1.0
	v_cndmask_b32_e64 v68, 0, 1.0, s6
	s_delay_alu instid0(VALU_DEP_2) | instskip(NEXT) | instid1(VALU_DEP_2)
	v_cndmask_b32_e64 v67, v67, 1.0, vcc_lo
	v_mul_f32_e32 v68, v132, v68
	s_delay_alu instid0(VALU_DEP_1)
	v_fmac_f32_e32 v166, v67, v68
	s_clause 0x1
	scratch_load_b32 v67, off, off offset:3464
	scratch_load_b32 v68, off, off offset:3468
	s_waitcnt vmcnt(2)
	v_sub_f32_e32 v69, v69, v178
	s_waitcnt vmcnt(0)
	v_dual_sub_f32 v67, v67, v176 :: v_dual_sub_f32 v68, v68, v177
	s_delay_alu instid0(VALU_DEP_1) | instskip(NEXT) | instid1(VALU_DEP_1)
	v_mul_f32_e32 v68, v68, v68
	v_fmac_f32_e32 v68, v67, v67
	s_delay_alu instid0(VALU_DEP_1) | instskip(NEXT) | instid1(VALU_DEP_1)
	v_fmac_f32_e32 v68, v69, v69
	v_cmp_gt_f32_e32 vcc_lo, 0xf800000, v68
	v_mul_f32_e32 v67, 0x4f800000, v68
	s_delay_alu instid0(VALU_DEP_1) | instskip(NEXT) | instid1(VALU_DEP_1)
	v_cndmask_b32_e32 v67, v68, v67, vcc_lo
	v_sqrt_f32_e32 v68, v67
	s_waitcnt_depctr 0xfff
	v_add_nc_u32_e32 v69, -1, v68
	s_delay_alu instid0(VALU_DEP_1) | instskip(NEXT) | instid1(VALU_DEP_1)
	v_fma_f32 v70, -v69, v68, v67
	v_cmp_ge_f32_e64 s6, 0, v70
	v_add_nc_u32_e32 v70, 1, v68
	s_delay_alu instid0(VALU_DEP_2) | instskip(NEXT) | instid1(VALU_DEP_2)
	v_cndmask_b32_e64 v69, v68, v69, s6
	v_fma_f32 v68, -v70, v68, v67
	s_delay_alu instid0(VALU_DEP_1) | instskip(NEXT) | instid1(VALU_DEP_1)
	v_cmp_lt_f32_e64 s6, 0, v68
	v_cndmask_b32_e64 v68, v69, v70, s6
	s_delay_alu instid0(VALU_DEP_1) | instskip(NEXT) | instid1(VALU_DEP_1)
	v_mul_f32_e32 v69, 0x37800000, v68
	v_cndmask_b32_e32 v68, v68, v69, vcc_lo
	v_cmp_class_f32_e64 vcc_lo, v67, 0x260
	s_delay_alu instid0(VALU_DEP_2) | instskip(NEXT) | instid1(VALU_DEP_1)
	v_cndmask_b32_e32 v67, v68, v67, vcc_lo
	v_sub_f32_e32 v68, v67, v61
	v_fma_f32 v67, -v64, v67, 1.0
	s_delay_alu instid0(VALU_DEP_2) | instskip(SKIP_2) | instid1(VALU_DEP_1)
	v_cmp_gt_f32_e32 vcc_lo, 0, v68
	v_cmp_lt_f32_e64 s6, v68, v62
	v_cndmask_b32_e64 v69, 0, 0x42980000, vcc_lo
	v_fmac_f32_e32 v167, v67, v69
	v_fma_f32 v67, -v63, v68, 1.0
	s_delay_alu instid0(VALU_DEP_4) | instskip(SKIP_1) | instid1(VALU_DEP_3)
	v_cndmask_b32_e64 v69, 0, 1.0, s6
	v_cmp_lt_f32_e64 s6, v68, v179
	v_cndmask_b32_e64 v67, v67, 1.0, vcc_lo
	s_delay_alu instid0(VALU_DEP_2) | instskip(NEXT) | instid1(VALU_DEP_1)
	s_and_b32 s6, s5, s6
	v_mul_f32_e32 v67, v69, v67
	scratch_load_b32 v69, off, off offset:3484 ; 4-byte Folded Reload
	v_mul_f32_e32 v67, v66, v67
	s_delay_alu instid0(VALU_DEP_1) | instskip(NEXT) | instid1(VALU_DEP_1)
	v_cndmask_b32_e64 v67, v67, -|v67|, s23
	v_fmac_f32_e32 v167, 0x42340000, v67
	v_fma_f32 v67, -v65, v68, 1.0
	v_cndmask_b32_e64 v68, 0, 1.0, s6
	s_delay_alu instid0(VALU_DEP_2) | instskip(NEXT) | instid1(VALU_DEP_2)
	v_cndmask_b32_e64 v67, v67, 1.0, vcc_lo
	v_mul_f32_e32 v68, v132, v68
	s_delay_alu instid0(VALU_DEP_1)
	v_fmac_f32_e32 v167, v67, v68
	s_clause 0x1
	scratch_load_b32 v67, off, off offset:3476
	scratch_load_b32 v68, off, off offset:3480
	s_waitcnt vmcnt(2)
	v_sub_f32_e32 v69, v69, v178
	s_waitcnt vmcnt(0)
	v_dual_sub_f32 v67, v67, v176 :: v_dual_sub_f32 v68, v68, v177
	s_delay_alu instid0(VALU_DEP_1) | instskip(NEXT) | instid1(VALU_DEP_1)
	v_mul_f32_e32 v68, v68, v68
	v_fmac_f32_e32 v68, v67, v67
	s_delay_alu instid0(VALU_DEP_1) | instskip(NEXT) | instid1(VALU_DEP_1)
	v_fmac_f32_e32 v68, v69, v69
	v_cmp_gt_f32_e32 vcc_lo, 0xf800000, v68
	v_mul_f32_e32 v67, 0x4f800000, v68
	s_delay_alu instid0(VALU_DEP_1) | instskip(NEXT) | instid1(VALU_DEP_1)
	v_cndmask_b32_e32 v67, v68, v67, vcc_lo
	v_sqrt_f32_e32 v68, v67
	s_waitcnt_depctr 0xfff
	v_add_nc_u32_e32 v69, -1, v68
	s_delay_alu instid0(VALU_DEP_1) | instskip(NEXT) | instid1(VALU_DEP_1)
	v_fma_f32 v70, -v69, v68, v67
	v_cmp_ge_f32_e64 s6, 0, v70
	v_add_nc_u32_e32 v70, 1, v68
	s_delay_alu instid0(VALU_DEP_2) | instskip(NEXT) | instid1(VALU_DEP_2)
	v_cndmask_b32_e64 v69, v68, v69, s6
	v_fma_f32 v68, -v70, v68, v67
	s_delay_alu instid0(VALU_DEP_1) | instskip(NEXT) | instid1(VALU_DEP_1)
	v_cmp_lt_f32_e64 s6, 0, v68
	v_cndmask_b32_e64 v68, v69, v70, s6
	s_delay_alu instid0(VALU_DEP_1) | instskip(NEXT) | instid1(VALU_DEP_1)
	v_mul_f32_e32 v69, 0x37800000, v68
	v_cndmask_b32_e32 v68, v68, v69, vcc_lo
	v_cmp_class_f32_e64 vcc_lo, v67, 0x260
	s_delay_alu instid0(VALU_DEP_2) | instskip(NEXT) | instid1(VALU_DEP_1)
	v_cndmask_b32_e32 v67, v68, v67, vcc_lo
	v_sub_f32_e32 v68, v67, v61
	v_fma_f32 v67, -v64, v67, 1.0
	s_delay_alu instid0(VALU_DEP_2) | instskip(SKIP_2) | instid1(VALU_DEP_1)
	v_cmp_gt_f32_e32 vcc_lo, 0, v68
	v_cmp_lt_f32_e64 s6, v68, v62
	v_cndmask_b32_e64 v69, 0, 0x42980000, vcc_lo
	v_fmac_f32_e32 v160, v67, v69
	v_fma_f32 v67, -v63, v68, 1.0
	s_delay_alu instid0(VALU_DEP_4) | instskip(SKIP_1) | instid1(VALU_DEP_3)
	v_cndmask_b32_e64 v69, 0, 1.0, s6
	v_cmp_lt_f32_e64 s6, v68, v179
	v_cndmask_b32_e64 v67, v67, 1.0, vcc_lo
	s_delay_alu instid0(VALU_DEP_2) | instskip(NEXT) | instid1(VALU_DEP_1)
	s_and_b32 s6, s5, s6
	v_mul_f32_e32 v67, v69, v67
	scratch_load_b32 v69, off, off offset:3496 ; 4-byte Folded Reload
	v_mul_f32_e32 v67, v66, v67
	s_delay_alu instid0(VALU_DEP_1) | instskip(NEXT) | instid1(VALU_DEP_1)
	v_cndmask_b32_e64 v67, v67, -|v67|, s23
	v_fmac_f32_e32 v160, 0x42340000, v67
	v_fma_f32 v67, -v65, v68, 1.0
	v_cndmask_b32_e64 v68, 0, 1.0, s6
	s_delay_alu instid0(VALU_DEP_2) | instskip(NEXT) | instid1(VALU_DEP_2)
	v_cndmask_b32_e64 v67, v67, 1.0, vcc_lo
	v_mul_f32_e32 v68, v132, v68
	s_delay_alu instid0(VALU_DEP_1)
	v_fmac_f32_e32 v160, v67, v68
	s_clause 0x1
	scratch_load_b32 v67, off, off offset:3488
	scratch_load_b32 v68, off, off offset:3492
	s_waitcnt vmcnt(2)
	v_sub_f32_e32 v69, v69, v178
	s_waitcnt vmcnt(0)
	v_dual_sub_f32 v67, v67, v176 :: v_dual_sub_f32 v68, v68, v177
	s_delay_alu instid0(VALU_DEP_1) | instskip(NEXT) | instid1(VALU_DEP_1)
	v_mul_f32_e32 v68, v68, v68
	v_fmac_f32_e32 v68, v67, v67
	s_delay_alu instid0(VALU_DEP_1) | instskip(NEXT) | instid1(VALU_DEP_1)
	v_fmac_f32_e32 v68, v69, v69
	v_cmp_gt_f32_e32 vcc_lo, 0xf800000, v68
	v_mul_f32_e32 v67, 0x4f800000, v68
	s_delay_alu instid0(VALU_DEP_1) | instskip(NEXT) | instid1(VALU_DEP_1)
	v_cndmask_b32_e32 v67, v68, v67, vcc_lo
	v_sqrt_f32_e32 v68, v67
	s_waitcnt_depctr 0xfff
	v_add_nc_u32_e32 v69, -1, v68
	s_delay_alu instid0(VALU_DEP_1) | instskip(NEXT) | instid1(VALU_DEP_1)
	v_fma_f32 v70, -v69, v68, v67
	v_cmp_ge_f32_e64 s6, 0, v70
	v_add_nc_u32_e32 v70, 1, v68
	s_delay_alu instid0(VALU_DEP_2) | instskip(NEXT) | instid1(VALU_DEP_2)
	v_cndmask_b32_e64 v69, v68, v69, s6
	v_fma_f32 v68, -v70, v68, v67
	s_delay_alu instid0(VALU_DEP_1) | instskip(NEXT) | instid1(VALU_DEP_1)
	v_cmp_lt_f32_e64 s6, 0, v68
	v_cndmask_b32_e64 v68, v69, v70, s6
	s_delay_alu instid0(VALU_DEP_1) | instskip(NEXT) | instid1(VALU_DEP_1)
	v_mul_f32_e32 v69, 0x37800000, v68
	v_cndmask_b32_e32 v68, v68, v69, vcc_lo
	v_cmp_class_f32_e64 vcc_lo, v67, 0x260
	s_delay_alu instid0(VALU_DEP_2) | instskip(NEXT) | instid1(VALU_DEP_1)
	v_cndmask_b32_e32 v67, v68, v67, vcc_lo
	v_sub_f32_e32 v68, v67, v61
	v_fma_f32 v67, -v64, v67, 1.0
	s_delay_alu instid0(VALU_DEP_2) | instskip(SKIP_2) | instid1(VALU_DEP_1)
	v_cmp_gt_f32_e32 vcc_lo, 0, v68
	v_cmp_lt_f32_e64 s6, v68, v62
	v_cndmask_b32_e64 v69, 0, 0x42980000, vcc_lo
	v_fmac_f32_e32 v161, v67, v69
	v_fma_f32 v67, -v63, v68, 1.0
	s_delay_alu instid0(VALU_DEP_4) | instskip(SKIP_1) | instid1(VALU_DEP_3)
	v_cndmask_b32_e64 v69, 0, 1.0, s6
	v_cmp_lt_f32_e64 s6, v68, v179
	v_cndmask_b32_e64 v67, v67, 1.0, vcc_lo
	s_delay_alu instid0(VALU_DEP_2) | instskip(NEXT) | instid1(VALU_DEP_1)
	s_and_b32 s6, s5, s6
	v_mul_f32_e32 v67, v69, v67
	scratch_load_b32 v69, off, off offset:3508 ; 4-byte Folded Reload
	v_mul_f32_e32 v67, v66, v67
	s_delay_alu instid0(VALU_DEP_1) | instskip(NEXT) | instid1(VALU_DEP_1)
	v_cndmask_b32_e64 v67, v67, -|v67|, s23
	v_fmac_f32_e32 v161, 0x42340000, v67
	v_fma_f32 v67, -v65, v68, 1.0
	v_cndmask_b32_e64 v68, 0, 1.0, s6
	s_delay_alu instid0(VALU_DEP_2) | instskip(NEXT) | instid1(VALU_DEP_2)
	v_cndmask_b32_e64 v67, v67, 1.0, vcc_lo
	v_mul_f32_e32 v68, v132, v68
	s_delay_alu instid0(VALU_DEP_1)
	v_fmac_f32_e32 v161, v67, v68
	s_clause 0x1
	scratch_load_b32 v67, off, off offset:3500
	scratch_load_b32 v68, off, off offset:3504
	s_waitcnt vmcnt(2)
	v_sub_f32_e32 v69, v69, v178
	s_waitcnt vmcnt(0)
	v_dual_sub_f32 v67, v67, v176 :: v_dual_sub_f32 v68, v68, v177
	s_delay_alu instid0(VALU_DEP_1) | instskip(NEXT) | instid1(VALU_DEP_1)
	v_mul_f32_e32 v68, v68, v68
	v_fmac_f32_e32 v68, v67, v67
	s_delay_alu instid0(VALU_DEP_1) | instskip(NEXT) | instid1(VALU_DEP_1)
	v_fmac_f32_e32 v68, v69, v69
	v_cmp_gt_f32_e32 vcc_lo, 0xf800000, v68
	v_mul_f32_e32 v67, 0x4f800000, v68
	s_delay_alu instid0(VALU_DEP_1) | instskip(NEXT) | instid1(VALU_DEP_1)
	v_cndmask_b32_e32 v67, v68, v67, vcc_lo
	v_sqrt_f32_e32 v68, v67
	s_waitcnt_depctr 0xfff
	v_add_nc_u32_e32 v69, -1, v68
	s_delay_alu instid0(VALU_DEP_1) | instskip(NEXT) | instid1(VALU_DEP_1)
	v_fma_f32 v70, -v69, v68, v67
	v_cmp_ge_f32_e64 s6, 0, v70
	v_add_nc_u32_e32 v70, 1, v68
	s_delay_alu instid0(VALU_DEP_2) | instskip(NEXT) | instid1(VALU_DEP_2)
	v_cndmask_b32_e64 v69, v68, v69, s6
	v_fma_f32 v68, -v70, v68, v67
	s_delay_alu instid0(VALU_DEP_1) | instskip(NEXT) | instid1(VALU_DEP_1)
	v_cmp_lt_f32_e64 s6, 0, v68
	v_cndmask_b32_e64 v68, v69, v70, s6
	s_delay_alu instid0(VALU_DEP_1) | instskip(NEXT) | instid1(VALU_DEP_1)
	v_mul_f32_e32 v69, 0x37800000, v68
	v_cndmask_b32_e32 v68, v68, v69, vcc_lo
	v_cmp_class_f32_e64 vcc_lo, v67, 0x260
	s_delay_alu instid0(VALU_DEP_2) | instskip(NEXT) | instid1(VALU_DEP_1)
	v_cndmask_b32_e32 v67, v68, v67, vcc_lo
	v_sub_f32_e32 v68, v67, v61
	v_fma_f32 v67, -v64, v67, 1.0
	s_delay_alu instid0(VALU_DEP_2) | instskip(SKIP_2) | instid1(VALU_DEP_1)
	v_cmp_gt_f32_e32 vcc_lo, 0, v68
	v_cmp_lt_f32_e64 s6, v68, v62
	v_cndmask_b32_e64 v69, 0, 0x42980000, vcc_lo
	v_fmac_f32_e32 v162, v67, v69
	v_fma_f32 v67, -v63, v68, 1.0
	s_delay_alu instid0(VALU_DEP_4) | instskip(SKIP_1) | instid1(VALU_DEP_3)
	v_cndmask_b32_e64 v69, 0, 1.0, s6
	v_cmp_lt_f32_e64 s6, v68, v179
	v_cndmask_b32_e64 v67, v67, 1.0, vcc_lo
	s_delay_alu instid0(VALU_DEP_2) | instskip(NEXT) | instid1(VALU_DEP_1)
	s_and_b32 s6, s5, s6
	v_mul_f32_e32 v67, v69, v67
	scratch_load_b32 v69, off, off offset:3520 ; 4-byte Folded Reload
	v_mul_f32_e32 v67, v66, v67
	s_delay_alu instid0(VALU_DEP_1) | instskip(NEXT) | instid1(VALU_DEP_1)
	v_cndmask_b32_e64 v67, v67, -|v67|, s23
	v_fmac_f32_e32 v162, 0x42340000, v67
	v_fma_f32 v67, -v65, v68, 1.0
	v_cndmask_b32_e64 v68, 0, 1.0, s6
	s_delay_alu instid0(VALU_DEP_2) | instskip(NEXT) | instid1(VALU_DEP_2)
	v_cndmask_b32_e64 v67, v67, 1.0, vcc_lo
	v_mul_f32_e32 v68, v132, v68
	s_delay_alu instid0(VALU_DEP_1)
	v_fmac_f32_e32 v162, v67, v68
	s_clause 0x1
	scratch_load_b32 v67, off, off offset:3512
	scratch_load_b32 v68, off, off offset:3516
	s_waitcnt vmcnt(2)
	v_sub_f32_e32 v69, v69, v178
	s_waitcnt vmcnt(0)
	v_dual_sub_f32 v67, v67, v176 :: v_dual_sub_f32 v68, v68, v177
	s_delay_alu instid0(VALU_DEP_1) | instskip(NEXT) | instid1(VALU_DEP_1)
	v_mul_f32_e32 v68, v68, v68
	v_fmac_f32_e32 v68, v67, v67
	s_delay_alu instid0(VALU_DEP_1) | instskip(NEXT) | instid1(VALU_DEP_1)
	v_fmac_f32_e32 v68, v69, v69
	v_cmp_gt_f32_e32 vcc_lo, 0xf800000, v68
	v_mul_f32_e32 v67, 0x4f800000, v68
	s_delay_alu instid0(VALU_DEP_1) | instskip(NEXT) | instid1(VALU_DEP_1)
	v_cndmask_b32_e32 v67, v68, v67, vcc_lo
	v_sqrt_f32_e32 v68, v67
	s_waitcnt_depctr 0xfff
	v_add_nc_u32_e32 v69, -1, v68
	s_delay_alu instid0(VALU_DEP_1) | instskip(NEXT) | instid1(VALU_DEP_1)
	v_fma_f32 v70, -v69, v68, v67
	v_cmp_ge_f32_e64 s6, 0, v70
	v_add_nc_u32_e32 v70, 1, v68
	s_delay_alu instid0(VALU_DEP_2) | instskip(NEXT) | instid1(VALU_DEP_2)
	v_cndmask_b32_e64 v69, v68, v69, s6
	v_fma_f32 v68, -v70, v68, v67
	s_delay_alu instid0(VALU_DEP_1) | instskip(NEXT) | instid1(VALU_DEP_1)
	v_cmp_lt_f32_e64 s6, 0, v68
	v_cndmask_b32_e64 v68, v69, v70, s6
	s_delay_alu instid0(VALU_DEP_1) | instskip(NEXT) | instid1(VALU_DEP_1)
	v_mul_f32_e32 v69, 0x37800000, v68
	v_cndmask_b32_e32 v68, v68, v69, vcc_lo
	v_cmp_class_f32_e64 vcc_lo, v67, 0x260
	s_delay_alu instid0(VALU_DEP_2) | instskip(NEXT) | instid1(VALU_DEP_1)
	v_cndmask_b32_e32 v67, v68, v67, vcc_lo
	v_sub_f32_e32 v68, v67, v61
	v_fma_f32 v67, -v64, v67, 1.0
	s_delay_alu instid0(VALU_DEP_2) | instskip(SKIP_2) | instid1(VALU_DEP_1)
	v_cmp_gt_f32_e32 vcc_lo, 0, v68
	v_cmp_lt_f32_e64 s6, v68, v62
	v_cndmask_b32_e64 v69, 0, 0x42980000, vcc_lo
	v_fmac_f32_e32 v163, v67, v69
	v_fma_f32 v67, -v63, v68, 1.0
	s_delay_alu instid0(VALU_DEP_4) | instskip(SKIP_1) | instid1(VALU_DEP_3)
	v_cndmask_b32_e64 v69, 0, 1.0, s6
	v_cmp_lt_f32_e64 s6, v68, v179
	v_cndmask_b32_e64 v67, v67, 1.0, vcc_lo
	s_delay_alu instid0(VALU_DEP_2) | instskip(NEXT) | instid1(VALU_DEP_1)
	s_and_b32 s6, s5, s6
	v_mul_f32_e32 v67, v69, v67
	scratch_load_b32 v69, off, off offset:3532 ; 4-byte Folded Reload
	v_mul_f32_e32 v67, v66, v67
	s_delay_alu instid0(VALU_DEP_1) | instskip(NEXT) | instid1(VALU_DEP_1)
	v_cndmask_b32_e64 v67, v67, -|v67|, s23
	v_fmac_f32_e32 v163, 0x42340000, v67
	v_fma_f32 v67, -v65, v68, 1.0
	v_cndmask_b32_e64 v68, 0, 1.0, s6
	s_delay_alu instid0(VALU_DEP_2) | instskip(NEXT) | instid1(VALU_DEP_2)
	v_cndmask_b32_e64 v67, v67, 1.0, vcc_lo
	v_mul_f32_e32 v68, v132, v68
	s_delay_alu instid0(VALU_DEP_1)
	v_fmac_f32_e32 v163, v67, v68
	s_clause 0x1
	scratch_load_b32 v67, off, off offset:3524
	scratch_load_b32 v68, off, off offset:3528
	s_waitcnt vmcnt(2)
	v_sub_f32_e32 v69, v69, v178
	s_waitcnt vmcnt(0)
	v_dual_sub_f32 v67, v67, v176 :: v_dual_sub_f32 v68, v68, v177
	s_delay_alu instid0(VALU_DEP_1) | instskip(NEXT) | instid1(VALU_DEP_1)
	v_mul_f32_e32 v68, v68, v68
	v_fmac_f32_e32 v68, v67, v67
	s_delay_alu instid0(VALU_DEP_1) | instskip(NEXT) | instid1(VALU_DEP_1)
	v_fmac_f32_e32 v68, v69, v69
	v_cmp_gt_f32_e32 vcc_lo, 0xf800000, v68
	v_mul_f32_e32 v67, 0x4f800000, v68
	s_delay_alu instid0(VALU_DEP_1) | instskip(NEXT) | instid1(VALU_DEP_1)
	v_cndmask_b32_e32 v67, v68, v67, vcc_lo
	v_sqrt_f32_e32 v68, v67
	s_waitcnt_depctr 0xfff
	v_add_nc_u32_e32 v69, -1, v68
	s_delay_alu instid0(VALU_DEP_1) | instskip(NEXT) | instid1(VALU_DEP_1)
	v_fma_f32 v70, -v69, v68, v67
	v_cmp_ge_f32_e64 s6, 0, v70
	v_add_nc_u32_e32 v70, 1, v68
	s_delay_alu instid0(VALU_DEP_2) | instskip(NEXT) | instid1(VALU_DEP_2)
	v_cndmask_b32_e64 v69, v68, v69, s6
	v_fma_f32 v68, -v70, v68, v67
	s_delay_alu instid0(VALU_DEP_1) | instskip(NEXT) | instid1(VALU_DEP_1)
	v_cmp_lt_f32_e64 s6, 0, v68
	v_cndmask_b32_e64 v68, v69, v70, s6
	s_delay_alu instid0(VALU_DEP_1) | instskip(NEXT) | instid1(VALU_DEP_1)
	v_mul_f32_e32 v69, 0x37800000, v68
	v_cndmask_b32_e32 v68, v68, v69, vcc_lo
	v_cmp_class_f32_e64 vcc_lo, v67, 0x260
	s_delay_alu instid0(VALU_DEP_2) | instskip(NEXT) | instid1(VALU_DEP_1)
	v_cndmask_b32_e32 v67, v68, v67, vcc_lo
	v_sub_f32_e32 v68, v67, v61
	v_fma_f32 v67, -v64, v67, 1.0
	s_delay_alu instid0(VALU_DEP_2) | instskip(SKIP_2) | instid1(VALU_DEP_1)
	v_cmp_gt_f32_e32 vcc_lo, 0, v68
	v_cmp_lt_f32_e64 s6, v68, v62
	v_cndmask_b32_e64 v69, 0, 0x42980000, vcc_lo
	v_fmac_f32_e32 v156, v67, v69
	v_fma_f32 v67, -v63, v68, 1.0
	s_delay_alu instid0(VALU_DEP_4) | instskip(SKIP_1) | instid1(VALU_DEP_3)
	v_cndmask_b32_e64 v69, 0, 1.0, s6
	v_cmp_lt_f32_e64 s6, v68, v179
	v_cndmask_b32_e64 v67, v67, 1.0, vcc_lo
	s_delay_alu instid0(VALU_DEP_2) | instskip(NEXT) | instid1(VALU_DEP_1)
	s_and_b32 s6, s5, s6
	v_mul_f32_e32 v67, v69, v67
	scratch_load_b32 v69, off, off offset:3544 ; 4-byte Folded Reload
	v_mul_f32_e32 v67, v66, v67
	s_delay_alu instid0(VALU_DEP_1) | instskip(NEXT) | instid1(VALU_DEP_1)
	v_cndmask_b32_e64 v67, v67, -|v67|, s23
	v_fmac_f32_e32 v156, 0x42340000, v67
	v_fma_f32 v67, -v65, v68, 1.0
	v_cndmask_b32_e64 v68, 0, 1.0, s6
	s_delay_alu instid0(VALU_DEP_2) | instskip(NEXT) | instid1(VALU_DEP_2)
	v_cndmask_b32_e64 v67, v67, 1.0, vcc_lo
	v_mul_f32_e32 v68, v132, v68
	s_delay_alu instid0(VALU_DEP_1)
	v_fmac_f32_e32 v156, v67, v68
	s_clause 0x1
	scratch_load_b32 v67, off, off offset:3536
	scratch_load_b32 v68, off, off offset:3540
	s_waitcnt vmcnt(2)
	v_sub_f32_e32 v69, v69, v178
	s_waitcnt vmcnt(0)
	v_dual_sub_f32 v67, v67, v176 :: v_dual_sub_f32 v68, v68, v177
	s_delay_alu instid0(VALU_DEP_1) | instskip(NEXT) | instid1(VALU_DEP_1)
	v_mul_f32_e32 v68, v68, v68
	v_fmac_f32_e32 v68, v67, v67
	s_delay_alu instid0(VALU_DEP_1) | instskip(NEXT) | instid1(VALU_DEP_1)
	v_fmac_f32_e32 v68, v69, v69
	v_cmp_gt_f32_e32 vcc_lo, 0xf800000, v68
	v_mul_f32_e32 v67, 0x4f800000, v68
	s_delay_alu instid0(VALU_DEP_1) | instskip(NEXT) | instid1(VALU_DEP_1)
	v_cndmask_b32_e32 v67, v68, v67, vcc_lo
	v_sqrt_f32_e32 v68, v67
	s_waitcnt_depctr 0xfff
	v_add_nc_u32_e32 v69, -1, v68
	s_delay_alu instid0(VALU_DEP_1) | instskip(NEXT) | instid1(VALU_DEP_1)
	v_fma_f32 v70, -v69, v68, v67
	v_cmp_ge_f32_e64 s6, 0, v70
	v_add_nc_u32_e32 v70, 1, v68
	s_delay_alu instid0(VALU_DEP_2) | instskip(NEXT) | instid1(VALU_DEP_2)
	v_cndmask_b32_e64 v69, v68, v69, s6
	v_fma_f32 v68, -v70, v68, v67
	s_delay_alu instid0(VALU_DEP_1) | instskip(NEXT) | instid1(VALU_DEP_1)
	v_cmp_lt_f32_e64 s6, 0, v68
	v_cndmask_b32_e64 v68, v69, v70, s6
	s_delay_alu instid0(VALU_DEP_1) | instskip(NEXT) | instid1(VALU_DEP_1)
	v_mul_f32_e32 v69, 0x37800000, v68
	v_cndmask_b32_e32 v68, v68, v69, vcc_lo
	v_cmp_class_f32_e64 vcc_lo, v67, 0x260
	s_delay_alu instid0(VALU_DEP_2) | instskip(NEXT) | instid1(VALU_DEP_1)
	v_cndmask_b32_e32 v67, v68, v67, vcc_lo
	v_sub_f32_e32 v68, v67, v61
	v_fma_f32 v67, -v64, v67, 1.0
	s_delay_alu instid0(VALU_DEP_2) | instskip(SKIP_2) | instid1(VALU_DEP_1)
	v_cmp_gt_f32_e32 vcc_lo, 0, v68
	v_cmp_lt_f32_e64 s6, v68, v62
	v_cndmask_b32_e64 v69, 0, 0x42980000, vcc_lo
	v_fmac_f32_e32 v157, v67, v69
	v_fma_f32 v67, -v63, v68, 1.0
	s_delay_alu instid0(VALU_DEP_4) | instskip(SKIP_1) | instid1(VALU_DEP_3)
	v_cndmask_b32_e64 v69, 0, 1.0, s6
	v_cmp_lt_f32_e64 s6, v68, v179
	v_cndmask_b32_e64 v67, v67, 1.0, vcc_lo
	s_delay_alu instid0(VALU_DEP_2) | instskip(NEXT) | instid1(VALU_DEP_1)
	s_and_b32 s6, s5, s6
	v_mul_f32_e32 v67, v69, v67
	scratch_load_b32 v69, off, off offset:3556 ; 4-byte Folded Reload
	v_mul_f32_e32 v67, v66, v67
	s_delay_alu instid0(VALU_DEP_1) | instskip(NEXT) | instid1(VALU_DEP_1)
	v_cndmask_b32_e64 v67, v67, -|v67|, s23
	v_fmac_f32_e32 v157, 0x42340000, v67
	v_fma_f32 v67, -v65, v68, 1.0
	v_cndmask_b32_e64 v68, 0, 1.0, s6
	s_delay_alu instid0(VALU_DEP_2) | instskip(NEXT) | instid1(VALU_DEP_2)
	v_cndmask_b32_e64 v67, v67, 1.0, vcc_lo
	v_mul_f32_e32 v68, v132, v68
	s_delay_alu instid0(VALU_DEP_1)
	v_fmac_f32_e32 v157, v67, v68
	s_clause 0x1
	scratch_load_b32 v67, off, off offset:3548
	scratch_load_b32 v68, off, off offset:3552
	s_waitcnt vmcnt(2)
	v_sub_f32_e32 v69, v69, v178
	s_waitcnt vmcnt(0)
	v_dual_sub_f32 v67, v67, v176 :: v_dual_sub_f32 v68, v68, v177
	s_delay_alu instid0(VALU_DEP_1) | instskip(NEXT) | instid1(VALU_DEP_1)
	v_mul_f32_e32 v68, v68, v68
	v_fmac_f32_e32 v68, v67, v67
	s_delay_alu instid0(VALU_DEP_1) | instskip(NEXT) | instid1(VALU_DEP_1)
	v_fmac_f32_e32 v68, v69, v69
	v_cmp_gt_f32_e32 vcc_lo, 0xf800000, v68
	v_mul_f32_e32 v67, 0x4f800000, v68
	s_delay_alu instid0(VALU_DEP_1) | instskip(NEXT) | instid1(VALU_DEP_1)
	v_cndmask_b32_e32 v67, v68, v67, vcc_lo
	v_sqrt_f32_e32 v68, v67
	s_waitcnt_depctr 0xfff
	v_add_nc_u32_e32 v69, -1, v68
	s_delay_alu instid0(VALU_DEP_1) | instskip(NEXT) | instid1(VALU_DEP_1)
	v_fma_f32 v70, -v69, v68, v67
	v_cmp_ge_f32_e64 s6, 0, v70
	v_add_nc_u32_e32 v70, 1, v68
	s_delay_alu instid0(VALU_DEP_2) | instskip(NEXT) | instid1(VALU_DEP_2)
	v_cndmask_b32_e64 v69, v68, v69, s6
	v_fma_f32 v68, -v70, v68, v67
	s_delay_alu instid0(VALU_DEP_1) | instskip(NEXT) | instid1(VALU_DEP_1)
	v_cmp_lt_f32_e64 s6, 0, v68
	v_cndmask_b32_e64 v68, v69, v70, s6
	s_delay_alu instid0(VALU_DEP_1) | instskip(NEXT) | instid1(VALU_DEP_1)
	v_mul_f32_e32 v69, 0x37800000, v68
	v_cndmask_b32_e32 v68, v68, v69, vcc_lo
	v_cmp_class_f32_e64 vcc_lo, v67, 0x260
	s_delay_alu instid0(VALU_DEP_2) | instskip(NEXT) | instid1(VALU_DEP_1)
	v_cndmask_b32_e32 v67, v68, v67, vcc_lo
	v_sub_f32_e32 v68, v67, v61
	v_fma_f32 v67, -v64, v67, 1.0
	s_delay_alu instid0(VALU_DEP_2) | instskip(SKIP_2) | instid1(VALU_DEP_1)
	v_cmp_gt_f32_e32 vcc_lo, 0, v68
	v_cmp_lt_f32_e64 s6, v68, v62
	v_cndmask_b32_e64 v69, 0, 0x42980000, vcc_lo
	v_fmac_f32_e32 v158, v67, v69
	v_fma_f32 v67, -v63, v68, 1.0
	s_delay_alu instid0(VALU_DEP_4) | instskip(SKIP_1) | instid1(VALU_DEP_3)
	v_cndmask_b32_e64 v69, 0, 1.0, s6
	v_cmp_lt_f32_e64 s6, v68, v179
	v_cndmask_b32_e64 v67, v67, 1.0, vcc_lo
	s_delay_alu instid0(VALU_DEP_2) | instskip(NEXT) | instid1(VALU_DEP_1)
	s_and_b32 s6, s5, s6
	v_mul_f32_e32 v67, v69, v67
	scratch_load_b32 v69, off, off offset:3568 ; 4-byte Folded Reload
	v_mul_f32_e32 v67, v66, v67
	s_delay_alu instid0(VALU_DEP_1) | instskip(NEXT) | instid1(VALU_DEP_1)
	v_cndmask_b32_e64 v67, v67, -|v67|, s23
	v_fmac_f32_e32 v158, 0x42340000, v67
	v_fma_f32 v67, -v65, v68, 1.0
	v_cndmask_b32_e64 v68, 0, 1.0, s6
	s_delay_alu instid0(VALU_DEP_2) | instskip(NEXT) | instid1(VALU_DEP_2)
	v_cndmask_b32_e64 v67, v67, 1.0, vcc_lo
	v_mul_f32_e32 v68, v132, v68
	s_delay_alu instid0(VALU_DEP_1)
	v_fmac_f32_e32 v158, v67, v68
	s_clause 0x1
	scratch_load_b32 v67, off, off offset:3560
	scratch_load_b32 v68, off, off offset:3564
	s_waitcnt vmcnt(2)
	v_sub_f32_e32 v69, v69, v178
	s_waitcnt vmcnt(0)
	v_dual_sub_f32 v67, v67, v176 :: v_dual_sub_f32 v68, v68, v177
	s_delay_alu instid0(VALU_DEP_1) | instskip(NEXT) | instid1(VALU_DEP_1)
	v_mul_f32_e32 v68, v68, v68
	v_fmac_f32_e32 v68, v67, v67
	s_delay_alu instid0(VALU_DEP_1) | instskip(NEXT) | instid1(VALU_DEP_1)
	v_fmac_f32_e32 v68, v69, v69
	v_cmp_gt_f32_e32 vcc_lo, 0xf800000, v68
	v_mul_f32_e32 v67, 0x4f800000, v68
	s_delay_alu instid0(VALU_DEP_1) | instskip(NEXT) | instid1(VALU_DEP_1)
	v_cndmask_b32_e32 v67, v68, v67, vcc_lo
	v_sqrt_f32_e32 v68, v67
	s_waitcnt_depctr 0xfff
	v_add_nc_u32_e32 v69, -1, v68
	s_delay_alu instid0(VALU_DEP_1) | instskip(NEXT) | instid1(VALU_DEP_1)
	v_fma_f32 v70, -v69, v68, v67
	v_cmp_ge_f32_e64 s6, 0, v70
	v_add_nc_u32_e32 v70, 1, v68
	s_delay_alu instid0(VALU_DEP_2) | instskip(NEXT) | instid1(VALU_DEP_2)
	v_cndmask_b32_e64 v69, v68, v69, s6
	v_fma_f32 v68, -v70, v68, v67
	s_delay_alu instid0(VALU_DEP_1) | instskip(NEXT) | instid1(VALU_DEP_1)
	v_cmp_lt_f32_e64 s6, 0, v68
	v_cndmask_b32_e64 v68, v69, v70, s6
	s_delay_alu instid0(VALU_DEP_1) | instskip(NEXT) | instid1(VALU_DEP_1)
	v_mul_f32_e32 v69, 0x37800000, v68
	v_cndmask_b32_e32 v68, v68, v69, vcc_lo
	v_cmp_class_f32_e64 vcc_lo, v67, 0x260
	s_delay_alu instid0(VALU_DEP_2) | instskip(NEXT) | instid1(VALU_DEP_1)
	v_cndmask_b32_e32 v67, v68, v67, vcc_lo
	v_sub_f32_e32 v68, v67, v61
	v_fma_f32 v67, -v64, v67, 1.0
	s_delay_alu instid0(VALU_DEP_2) | instskip(SKIP_2) | instid1(VALU_DEP_1)
	v_cmp_gt_f32_e32 vcc_lo, 0, v68
	v_cmp_lt_f32_e64 s6, v68, v62
	v_cndmask_b32_e64 v69, 0, 0x42980000, vcc_lo
	v_fmac_f32_e32 v159, v67, v69
	v_fma_f32 v67, -v63, v68, 1.0
	s_delay_alu instid0(VALU_DEP_4) | instskip(SKIP_1) | instid1(VALU_DEP_3)
	v_cndmask_b32_e64 v69, 0, 1.0, s6
	v_cmp_lt_f32_e64 s6, v68, v179
	v_cndmask_b32_e64 v67, v67, 1.0, vcc_lo
	s_delay_alu instid0(VALU_DEP_2) | instskip(NEXT) | instid1(VALU_DEP_1)
	s_and_b32 s6, s5, s6
	v_mul_f32_e32 v67, v69, v67
	scratch_load_b32 v69, off, off offset:3580 ; 4-byte Folded Reload
	v_mul_f32_e32 v67, v66, v67
	s_delay_alu instid0(VALU_DEP_1) | instskip(NEXT) | instid1(VALU_DEP_1)
	v_cndmask_b32_e64 v67, v67, -|v67|, s23
	v_fmac_f32_e32 v159, 0x42340000, v67
	v_fma_f32 v67, -v65, v68, 1.0
	v_cndmask_b32_e64 v68, 0, 1.0, s6
	s_delay_alu instid0(VALU_DEP_2) | instskip(NEXT) | instid1(VALU_DEP_2)
	v_cndmask_b32_e64 v67, v67, 1.0, vcc_lo
	v_mul_f32_e32 v68, v132, v68
	s_delay_alu instid0(VALU_DEP_1)
	v_fmac_f32_e32 v159, v67, v68
	s_clause 0x1
	scratch_load_b32 v67, off, off offset:3572
	scratch_load_b32 v68, off, off offset:3576
	s_waitcnt vmcnt(2)
	v_sub_f32_e32 v69, v69, v178
	s_waitcnt vmcnt(0)
	v_dual_sub_f32 v67, v67, v176 :: v_dual_sub_f32 v68, v68, v177
	s_delay_alu instid0(VALU_DEP_1) | instskip(NEXT) | instid1(VALU_DEP_1)
	v_mul_f32_e32 v68, v68, v68
	v_fmac_f32_e32 v68, v67, v67
	s_delay_alu instid0(VALU_DEP_1) | instskip(NEXT) | instid1(VALU_DEP_1)
	v_fmac_f32_e32 v68, v69, v69
	v_cmp_gt_f32_e32 vcc_lo, 0xf800000, v68
	v_mul_f32_e32 v67, 0x4f800000, v68
	s_delay_alu instid0(VALU_DEP_1) | instskip(NEXT) | instid1(VALU_DEP_1)
	v_cndmask_b32_e32 v67, v68, v67, vcc_lo
	v_sqrt_f32_e32 v68, v67
	s_waitcnt_depctr 0xfff
	v_add_nc_u32_e32 v69, -1, v68
	s_delay_alu instid0(VALU_DEP_1) | instskip(NEXT) | instid1(VALU_DEP_1)
	v_fma_f32 v70, -v69, v68, v67
	v_cmp_ge_f32_e64 s6, 0, v70
	v_add_nc_u32_e32 v70, 1, v68
	s_delay_alu instid0(VALU_DEP_2) | instskip(NEXT) | instid1(VALU_DEP_2)
	v_cndmask_b32_e64 v69, v68, v69, s6
	v_fma_f32 v68, -v70, v68, v67
	s_delay_alu instid0(VALU_DEP_1) | instskip(NEXT) | instid1(VALU_DEP_1)
	v_cmp_lt_f32_e64 s6, 0, v68
	v_cndmask_b32_e64 v68, v69, v70, s6
	s_delay_alu instid0(VALU_DEP_1) | instskip(NEXT) | instid1(VALU_DEP_1)
	v_mul_f32_e32 v69, 0x37800000, v68
	v_cndmask_b32_e32 v68, v68, v69, vcc_lo
	v_cmp_class_f32_e64 vcc_lo, v67, 0x260
	s_delay_alu instid0(VALU_DEP_2) | instskip(NEXT) | instid1(VALU_DEP_1)
	v_cndmask_b32_e32 v67, v68, v67, vcc_lo
	v_sub_f32_e32 v68, v67, v61
	v_fma_f32 v67, -v64, v67, 1.0
	s_delay_alu instid0(VALU_DEP_2) | instskip(SKIP_2) | instid1(VALU_DEP_1)
	v_cmp_gt_f32_e32 vcc_lo, 0, v68
	v_cmp_lt_f32_e64 s6, v68, v62
	v_cndmask_b32_e64 v69, 0, 0x42980000, vcc_lo
	v_fmac_f32_e32 v152, v67, v69
	v_fma_f32 v67, -v63, v68, 1.0
	s_delay_alu instid0(VALU_DEP_4) | instskip(SKIP_1) | instid1(VALU_DEP_3)
	v_cndmask_b32_e64 v69, 0, 1.0, s6
	v_cmp_lt_f32_e64 s6, v68, v179
	v_cndmask_b32_e64 v67, v67, 1.0, vcc_lo
	s_delay_alu instid0(VALU_DEP_2) | instskip(NEXT) | instid1(VALU_DEP_1)
	s_and_b32 s6, s5, s6
	v_mul_f32_e32 v67, v69, v67
	scratch_load_b32 v69, off, off offset:3592 ; 4-byte Folded Reload
	v_mul_f32_e32 v67, v66, v67
	s_delay_alu instid0(VALU_DEP_1) | instskip(NEXT) | instid1(VALU_DEP_1)
	v_cndmask_b32_e64 v67, v67, -|v67|, s23
	v_fmac_f32_e32 v152, 0x42340000, v67
	v_fma_f32 v67, -v65, v68, 1.0
	v_cndmask_b32_e64 v68, 0, 1.0, s6
	s_delay_alu instid0(VALU_DEP_2) | instskip(NEXT) | instid1(VALU_DEP_2)
	v_cndmask_b32_e64 v67, v67, 1.0, vcc_lo
	v_mul_f32_e32 v68, v132, v68
	s_delay_alu instid0(VALU_DEP_1)
	v_fmac_f32_e32 v152, v67, v68
	s_clause 0x1
	scratch_load_b32 v67, off, off offset:3584
	scratch_load_b32 v68, off, off offset:3588
	s_waitcnt vmcnt(2)
	v_sub_f32_e32 v69, v69, v178
	s_waitcnt vmcnt(0)
	v_dual_sub_f32 v67, v67, v176 :: v_dual_sub_f32 v68, v68, v177
	s_delay_alu instid0(VALU_DEP_1) | instskip(NEXT) | instid1(VALU_DEP_1)
	v_mul_f32_e32 v68, v68, v68
	v_fmac_f32_e32 v68, v67, v67
	s_delay_alu instid0(VALU_DEP_1) | instskip(NEXT) | instid1(VALU_DEP_1)
	v_fmac_f32_e32 v68, v69, v69
	v_cmp_gt_f32_e32 vcc_lo, 0xf800000, v68
	v_mul_f32_e32 v67, 0x4f800000, v68
	s_delay_alu instid0(VALU_DEP_1) | instskip(NEXT) | instid1(VALU_DEP_1)
	v_cndmask_b32_e32 v67, v68, v67, vcc_lo
	v_sqrt_f32_e32 v68, v67
	s_waitcnt_depctr 0xfff
	v_add_nc_u32_e32 v69, -1, v68
	s_delay_alu instid0(VALU_DEP_1) | instskip(NEXT) | instid1(VALU_DEP_1)
	v_fma_f32 v70, -v69, v68, v67
	v_cmp_ge_f32_e64 s6, 0, v70
	v_add_nc_u32_e32 v70, 1, v68
	s_delay_alu instid0(VALU_DEP_2) | instskip(NEXT) | instid1(VALU_DEP_2)
	v_cndmask_b32_e64 v69, v68, v69, s6
	v_fma_f32 v68, -v70, v68, v67
	s_delay_alu instid0(VALU_DEP_1) | instskip(NEXT) | instid1(VALU_DEP_1)
	v_cmp_lt_f32_e64 s6, 0, v68
	v_cndmask_b32_e64 v68, v69, v70, s6
	s_delay_alu instid0(VALU_DEP_1) | instskip(NEXT) | instid1(VALU_DEP_1)
	v_mul_f32_e32 v69, 0x37800000, v68
	v_cndmask_b32_e32 v68, v68, v69, vcc_lo
	v_cmp_class_f32_e64 vcc_lo, v67, 0x260
	s_delay_alu instid0(VALU_DEP_2) | instskip(NEXT) | instid1(VALU_DEP_1)
	v_cndmask_b32_e32 v67, v68, v67, vcc_lo
	v_sub_f32_e32 v68, v67, v61
	v_fma_f32 v67, -v64, v67, 1.0
	s_delay_alu instid0(VALU_DEP_2) | instskip(SKIP_2) | instid1(VALU_DEP_1)
	v_cmp_gt_f32_e32 vcc_lo, 0, v68
	v_cmp_lt_f32_e64 s6, v68, v62
	v_cndmask_b32_e64 v69, 0, 0x42980000, vcc_lo
	v_fmac_f32_e32 v153, v67, v69
	v_fma_f32 v67, -v63, v68, 1.0
	s_delay_alu instid0(VALU_DEP_4) | instskip(SKIP_1) | instid1(VALU_DEP_3)
	v_cndmask_b32_e64 v69, 0, 1.0, s6
	v_cmp_lt_f32_e64 s6, v68, v179
	v_cndmask_b32_e64 v67, v67, 1.0, vcc_lo
	s_delay_alu instid0(VALU_DEP_2) | instskip(NEXT) | instid1(VALU_DEP_1)
	s_and_b32 s6, s5, s6
	v_mul_f32_e32 v67, v69, v67
	scratch_load_b32 v69, off, off offset:3604 ; 4-byte Folded Reload
	v_mul_f32_e32 v67, v66, v67
	s_delay_alu instid0(VALU_DEP_1) | instskip(NEXT) | instid1(VALU_DEP_1)
	v_cndmask_b32_e64 v67, v67, -|v67|, s23
	v_fmac_f32_e32 v153, 0x42340000, v67
	v_fma_f32 v67, -v65, v68, 1.0
	v_cndmask_b32_e64 v68, 0, 1.0, s6
	s_delay_alu instid0(VALU_DEP_2) | instskip(NEXT) | instid1(VALU_DEP_2)
	v_cndmask_b32_e64 v67, v67, 1.0, vcc_lo
	v_mul_f32_e32 v68, v132, v68
	s_delay_alu instid0(VALU_DEP_1)
	v_fmac_f32_e32 v153, v67, v68
	s_clause 0x1
	scratch_load_b32 v67, off, off offset:3596
	scratch_load_b32 v68, off, off offset:3600
	s_waitcnt vmcnt(2)
	v_sub_f32_e32 v69, v69, v178
	s_waitcnt vmcnt(0)
	v_dual_sub_f32 v67, v67, v176 :: v_dual_sub_f32 v68, v68, v177
	s_delay_alu instid0(VALU_DEP_1) | instskip(NEXT) | instid1(VALU_DEP_1)
	v_mul_f32_e32 v68, v68, v68
	v_fmac_f32_e32 v68, v67, v67
	s_delay_alu instid0(VALU_DEP_1) | instskip(NEXT) | instid1(VALU_DEP_1)
	v_fmac_f32_e32 v68, v69, v69
	v_cmp_gt_f32_e32 vcc_lo, 0xf800000, v68
	v_mul_f32_e32 v67, 0x4f800000, v68
	s_delay_alu instid0(VALU_DEP_1) | instskip(NEXT) | instid1(VALU_DEP_1)
	v_cndmask_b32_e32 v67, v68, v67, vcc_lo
	v_sqrt_f32_e32 v68, v67
	s_waitcnt_depctr 0xfff
	v_add_nc_u32_e32 v69, -1, v68
	s_delay_alu instid0(VALU_DEP_1) | instskip(NEXT) | instid1(VALU_DEP_1)
	v_fma_f32 v70, -v69, v68, v67
	v_cmp_ge_f32_e64 s6, 0, v70
	v_add_nc_u32_e32 v70, 1, v68
	s_delay_alu instid0(VALU_DEP_2) | instskip(NEXT) | instid1(VALU_DEP_2)
	v_cndmask_b32_e64 v69, v68, v69, s6
	v_fma_f32 v68, -v70, v68, v67
	s_delay_alu instid0(VALU_DEP_1) | instskip(NEXT) | instid1(VALU_DEP_1)
	v_cmp_lt_f32_e64 s6, 0, v68
	v_cndmask_b32_e64 v68, v69, v70, s6
	s_delay_alu instid0(VALU_DEP_1) | instskip(NEXT) | instid1(VALU_DEP_1)
	v_mul_f32_e32 v69, 0x37800000, v68
	v_cndmask_b32_e32 v68, v68, v69, vcc_lo
	v_cmp_class_f32_e64 vcc_lo, v67, 0x260
	s_delay_alu instid0(VALU_DEP_2) | instskip(NEXT) | instid1(VALU_DEP_1)
	v_cndmask_b32_e32 v67, v68, v67, vcc_lo
	v_sub_f32_e32 v68, v67, v61
	v_fma_f32 v67, -v64, v67, 1.0
	s_delay_alu instid0(VALU_DEP_2) | instskip(SKIP_2) | instid1(VALU_DEP_1)
	v_cmp_gt_f32_e32 vcc_lo, 0, v68
	v_cmp_lt_f32_e64 s6, v68, v62
	v_cndmask_b32_e64 v69, 0, 0x42980000, vcc_lo
	v_fmac_f32_e32 v154, v67, v69
	v_fma_f32 v67, -v63, v68, 1.0
	s_delay_alu instid0(VALU_DEP_4) | instskip(SKIP_1) | instid1(VALU_DEP_3)
	v_cndmask_b32_e64 v69, 0, 1.0, s6
	v_cmp_lt_f32_e64 s6, v68, v179
	v_cndmask_b32_e64 v67, v67, 1.0, vcc_lo
	s_delay_alu instid0(VALU_DEP_2) | instskip(NEXT) | instid1(VALU_DEP_1)
	s_and_b32 s6, s5, s6
	v_mul_f32_e32 v67, v69, v67
	scratch_load_b32 v69, off, off offset:3616 ; 4-byte Folded Reload
	v_mul_f32_e32 v67, v66, v67
	s_delay_alu instid0(VALU_DEP_1) | instskip(NEXT) | instid1(VALU_DEP_1)
	v_cndmask_b32_e64 v67, v67, -|v67|, s23
	v_fmac_f32_e32 v154, 0x42340000, v67
	v_fma_f32 v67, -v65, v68, 1.0
	v_cndmask_b32_e64 v68, 0, 1.0, s6
	s_delay_alu instid0(VALU_DEP_2) | instskip(NEXT) | instid1(VALU_DEP_2)
	v_cndmask_b32_e64 v67, v67, 1.0, vcc_lo
	v_mul_f32_e32 v68, v132, v68
	s_delay_alu instid0(VALU_DEP_1)
	v_fmac_f32_e32 v154, v67, v68
	s_clause 0x1
	scratch_load_b32 v67, off, off offset:3608
	scratch_load_b32 v68, off, off offset:3612
	s_waitcnt vmcnt(2)
	v_sub_f32_e32 v69, v69, v178
	s_waitcnt vmcnt(0)
	v_dual_sub_f32 v67, v67, v176 :: v_dual_sub_f32 v68, v68, v177
	s_delay_alu instid0(VALU_DEP_1) | instskip(NEXT) | instid1(VALU_DEP_1)
	v_mul_f32_e32 v68, v68, v68
	v_fmac_f32_e32 v68, v67, v67
	s_delay_alu instid0(VALU_DEP_1) | instskip(NEXT) | instid1(VALU_DEP_1)
	v_fmac_f32_e32 v68, v69, v69
	v_cmp_gt_f32_e32 vcc_lo, 0xf800000, v68
	v_mul_f32_e32 v67, 0x4f800000, v68
	s_delay_alu instid0(VALU_DEP_1) | instskip(NEXT) | instid1(VALU_DEP_1)
	v_cndmask_b32_e32 v67, v68, v67, vcc_lo
	v_sqrt_f32_e32 v68, v67
	s_waitcnt_depctr 0xfff
	v_add_nc_u32_e32 v69, -1, v68
	s_delay_alu instid0(VALU_DEP_1) | instskip(NEXT) | instid1(VALU_DEP_1)
	v_fma_f32 v70, -v69, v68, v67
	v_cmp_ge_f32_e64 s6, 0, v70
	v_add_nc_u32_e32 v70, 1, v68
	s_delay_alu instid0(VALU_DEP_2) | instskip(NEXT) | instid1(VALU_DEP_2)
	v_cndmask_b32_e64 v69, v68, v69, s6
	v_fma_f32 v68, -v70, v68, v67
	s_delay_alu instid0(VALU_DEP_1) | instskip(NEXT) | instid1(VALU_DEP_1)
	v_cmp_lt_f32_e64 s6, 0, v68
	v_cndmask_b32_e64 v68, v69, v70, s6
	s_delay_alu instid0(VALU_DEP_1) | instskip(NEXT) | instid1(VALU_DEP_1)
	v_mul_f32_e32 v69, 0x37800000, v68
	v_cndmask_b32_e32 v68, v68, v69, vcc_lo
	v_cmp_class_f32_e64 vcc_lo, v67, 0x260
	s_delay_alu instid0(VALU_DEP_2) | instskip(NEXT) | instid1(VALU_DEP_1)
	v_cndmask_b32_e32 v67, v68, v67, vcc_lo
	v_sub_f32_e32 v68, v67, v61
	v_fma_f32 v67, -v64, v67, 1.0
	s_delay_alu instid0(VALU_DEP_2) | instskip(SKIP_2) | instid1(VALU_DEP_1)
	v_cmp_gt_f32_e32 vcc_lo, 0, v68
	v_cmp_lt_f32_e64 s6, v68, v62
	v_cndmask_b32_e64 v69, 0, 0x42980000, vcc_lo
	v_fmac_f32_e32 v155, v67, v69
	v_fma_f32 v67, -v63, v68, 1.0
	s_delay_alu instid0(VALU_DEP_4) | instskip(SKIP_1) | instid1(VALU_DEP_3)
	v_cndmask_b32_e64 v69, 0, 1.0, s6
	v_cmp_lt_f32_e64 s6, v68, v179
	v_cndmask_b32_e64 v67, v67, 1.0, vcc_lo
	s_delay_alu instid0(VALU_DEP_2) | instskip(NEXT) | instid1(VALU_DEP_1)
	s_and_b32 s6, s5, s6
	v_mul_f32_e32 v67, v69, v67
	scratch_load_b32 v69, off, off offset:3628 ; 4-byte Folded Reload
	v_mul_f32_e32 v67, v66, v67
	s_delay_alu instid0(VALU_DEP_1) | instskip(NEXT) | instid1(VALU_DEP_1)
	v_cndmask_b32_e64 v67, v67, -|v67|, s23
	v_fmac_f32_e32 v155, 0x42340000, v67
	v_fma_f32 v67, -v65, v68, 1.0
	v_cndmask_b32_e64 v68, 0, 1.0, s6
	s_delay_alu instid0(VALU_DEP_2) | instskip(NEXT) | instid1(VALU_DEP_2)
	v_cndmask_b32_e64 v67, v67, 1.0, vcc_lo
	v_mul_f32_e32 v68, v132, v68
	s_delay_alu instid0(VALU_DEP_1)
	v_fmac_f32_e32 v155, v67, v68
	s_clause 0x1
	scratch_load_b32 v67, off, off offset:3620
	scratch_load_b32 v68, off, off offset:3624
	s_waitcnt vmcnt(2)
	v_sub_f32_e32 v69, v69, v178
	s_waitcnt vmcnt(0)
	v_dual_sub_f32 v67, v67, v176 :: v_dual_sub_f32 v68, v68, v177
	s_delay_alu instid0(VALU_DEP_1) | instskip(NEXT) | instid1(VALU_DEP_1)
	v_mul_f32_e32 v68, v68, v68
	v_fmac_f32_e32 v68, v67, v67
	s_delay_alu instid0(VALU_DEP_1) | instskip(NEXT) | instid1(VALU_DEP_1)
	v_fmac_f32_e32 v68, v69, v69
	v_cmp_gt_f32_e32 vcc_lo, 0xf800000, v68
	v_mul_f32_e32 v67, 0x4f800000, v68
	s_delay_alu instid0(VALU_DEP_1) | instskip(NEXT) | instid1(VALU_DEP_1)
	v_cndmask_b32_e32 v67, v68, v67, vcc_lo
	v_sqrt_f32_e32 v68, v67
	s_waitcnt_depctr 0xfff
	v_add_nc_u32_e32 v69, -1, v68
	s_delay_alu instid0(VALU_DEP_1) | instskip(NEXT) | instid1(VALU_DEP_1)
	v_fma_f32 v70, -v69, v68, v67
	v_cmp_ge_f32_e64 s6, 0, v70
	v_add_nc_u32_e32 v70, 1, v68
	s_delay_alu instid0(VALU_DEP_2) | instskip(NEXT) | instid1(VALU_DEP_2)
	v_cndmask_b32_e64 v69, v68, v69, s6
	v_fma_f32 v68, -v70, v68, v67
	s_delay_alu instid0(VALU_DEP_1) | instskip(NEXT) | instid1(VALU_DEP_1)
	v_cmp_lt_f32_e64 s6, 0, v68
	v_cndmask_b32_e64 v68, v69, v70, s6
	s_delay_alu instid0(VALU_DEP_1) | instskip(NEXT) | instid1(VALU_DEP_1)
	v_mul_f32_e32 v69, 0x37800000, v68
	v_cndmask_b32_e32 v68, v68, v69, vcc_lo
	v_cmp_class_f32_e64 vcc_lo, v67, 0x260
	s_delay_alu instid0(VALU_DEP_2) | instskip(NEXT) | instid1(VALU_DEP_1)
	v_cndmask_b32_e32 v67, v68, v67, vcc_lo
	v_sub_f32_e32 v68, v67, v61
	v_fma_f32 v67, -v64, v67, 1.0
	s_delay_alu instid0(VALU_DEP_2) | instskip(SKIP_2) | instid1(VALU_DEP_1)
	v_cmp_gt_f32_e32 vcc_lo, 0, v68
	v_cmp_lt_f32_e64 s6, v68, v62
	v_cndmask_b32_e64 v69, 0, 0x42980000, vcc_lo
	v_fmac_f32_e32 v148, v67, v69
	v_fma_f32 v67, -v63, v68, 1.0
	s_delay_alu instid0(VALU_DEP_4) | instskip(SKIP_1) | instid1(VALU_DEP_3)
	v_cndmask_b32_e64 v69, 0, 1.0, s6
	v_cmp_lt_f32_e64 s6, v68, v179
	v_cndmask_b32_e64 v67, v67, 1.0, vcc_lo
	s_delay_alu instid0(VALU_DEP_2) | instskip(NEXT) | instid1(VALU_DEP_1)
	s_and_b32 s6, s5, s6
	v_mul_f32_e32 v67, v69, v67
	scratch_load_b32 v69, off, off offset:3640 ; 4-byte Folded Reload
	v_mul_f32_e32 v67, v66, v67
	s_delay_alu instid0(VALU_DEP_1) | instskip(NEXT) | instid1(VALU_DEP_1)
	v_cndmask_b32_e64 v67, v67, -|v67|, s23
	v_fmac_f32_e32 v148, 0x42340000, v67
	v_fma_f32 v67, -v65, v68, 1.0
	v_cndmask_b32_e64 v68, 0, 1.0, s6
	s_delay_alu instid0(VALU_DEP_2) | instskip(NEXT) | instid1(VALU_DEP_2)
	v_cndmask_b32_e64 v67, v67, 1.0, vcc_lo
	v_mul_f32_e32 v68, v132, v68
	s_delay_alu instid0(VALU_DEP_1)
	v_fmac_f32_e32 v148, v67, v68
	s_clause 0x1
	scratch_load_b32 v67, off, off offset:3632
	scratch_load_b32 v68, off, off offset:3636
	s_waitcnt vmcnt(2)
	v_sub_f32_e32 v69, v69, v178
	s_waitcnt vmcnt(0)
	v_dual_sub_f32 v67, v67, v176 :: v_dual_sub_f32 v68, v68, v177
	s_delay_alu instid0(VALU_DEP_1) | instskip(NEXT) | instid1(VALU_DEP_1)
	v_mul_f32_e32 v68, v68, v68
	v_fmac_f32_e32 v68, v67, v67
	s_delay_alu instid0(VALU_DEP_1) | instskip(NEXT) | instid1(VALU_DEP_1)
	v_fmac_f32_e32 v68, v69, v69
	v_cmp_gt_f32_e32 vcc_lo, 0xf800000, v68
	v_mul_f32_e32 v67, 0x4f800000, v68
	s_delay_alu instid0(VALU_DEP_1) | instskip(NEXT) | instid1(VALU_DEP_1)
	v_cndmask_b32_e32 v67, v68, v67, vcc_lo
	v_sqrt_f32_e32 v68, v67
	s_waitcnt_depctr 0xfff
	v_add_nc_u32_e32 v69, -1, v68
	s_delay_alu instid0(VALU_DEP_1) | instskip(NEXT) | instid1(VALU_DEP_1)
	v_fma_f32 v70, -v69, v68, v67
	v_cmp_ge_f32_e64 s6, 0, v70
	v_add_nc_u32_e32 v70, 1, v68
	s_delay_alu instid0(VALU_DEP_2) | instskip(NEXT) | instid1(VALU_DEP_2)
	v_cndmask_b32_e64 v69, v68, v69, s6
	v_fma_f32 v68, -v70, v68, v67
	s_delay_alu instid0(VALU_DEP_1) | instskip(NEXT) | instid1(VALU_DEP_1)
	v_cmp_lt_f32_e64 s6, 0, v68
	v_cndmask_b32_e64 v68, v69, v70, s6
	s_delay_alu instid0(VALU_DEP_1) | instskip(NEXT) | instid1(VALU_DEP_1)
	v_mul_f32_e32 v69, 0x37800000, v68
	v_cndmask_b32_e32 v68, v68, v69, vcc_lo
	v_cmp_class_f32_e64 vcc_lo, v67, 0x260
	s_delay_alu instid0(VALU_DEP_2) | instskip(NEXT) | instid1(VALU_DEP_1)
	v_cndmask_b32_e32 v67, v68, v67, vcc_lo
	v_sub_f32_e32 v68, v67, v61
	v_fma_f32 v67, -v64, v67, 1.0
	s_delay_alu instid0(VALU_DEP_2) | instskip(SKIP_2) | instid1(VALU_DEP_1)
	v_cmp_gt_f32_e32 vcc_lo, 0, v68
	v_cmp_lt_f32_e64 s6, v68, v62
	v_cndmask_b32_e64 v69, 0, 0x42980000, vcc_lo
	v_fmac_f32_e32 v149, v67, v69
	v_fma_f32 v67, -v63, v68, 1.0
	s_delay_alu instid0(VALU_DEP_4) | instskip(SKIP_1) | instid1(VALU_DEP_3)
	v_cndmask_b32_e64 v69, 0, 1.0, s6
	v_cmp_lt_f32_e64 s6, v68, v179
	v_cndmask_b32_e64 v67, v67, 1.0, vcc_lo
	s_delay_alu instid0(VALU_DEP_2) | instskip(NEXT) | instid1(VALU_DEP_1)
	s_and_b32 s6, s5, s6
	v_mul_f32_e32 v67, v69, v67
	scratch_load_b32 v69, off, off offset:3652 ; 4-byte Folded Reload
	v_mul_f32_e32 v67, v66, v67
	s_delay_alu instid0(VALU_DEP_1) | instskip(NEXT) | instid1(VALU_DEP_1)
	v_cndmask_b32_e64 v67, v67, -|v67|, s23
	v_fmac_f32_e32 v149, 0x42340000, v67
	v_fma_f32 v67, -v65, v68, 1.0
	v_cndmask_b32_e64 v68, 0, 1.0, s6
	s_delay_alu instid0(VALU_DEP_2) | instskip(NEXT) | instid1(VALU_DEP_2)
	v_cndmask_b32_e64 v67, v67, 1.0, vcc_lo
	v_mul_f32_e32 v68, v132, v68
	s_delay_alu instid0(VALU_DEP_1)
	v_fmac_f32_e32 v149, v67, v68
	s_clause 0x1
	scratch_load_b32 v67, off, off offset:3644
	scratch_load_b32 v68, off, off offset:3648
	s_waitcnt vmcnt(2)
	v_sub_f32_e32 v69, v69, v178
	s_waitcnt vmcnt(0)
	v_dual_sub_f32 v67, v67, v176 :: v_dual_sub_f32 v68, v68, v177
	s_delay_alu instid0(VALU_DEP_1) | instskip(NEXT) | instid1(VALU_DEP_1)
	v_mul_f32_e32 v68, v68, v68
	v_fmac_f32_e32 v68, v67, v67
	s_delay_alu instid0(VALU_DEP_1) | instskip(NEXT) | instid1(VALU_DEP_1)
	v_fmac_f32_e32 v68, v69, v69
	v_cmp_gt_f32_e32 vcc_lo, 0xf800000, v68
	v_mul_f32_e32 v67, 0x4f800000, v68
	s_delay_alu instid0(VALU_DEP_1) | instskip(NEXT) | instid1(VALU_DEP_1)
	v_cndmask_b32_e32 v67, v68, v67, vcc_lo
	v_sqrt_f32_e32 v68, v67
	s_waitcnt_depctr 0xfff
	v_add_nc_u32_e32 v69, -1, v68
	s_delay_alu instid0(VALU_DEP_1) | instskip(NEXT) | instid1(VALU_DEP_1)
	v_fma_f32 v70, -v69, v68, v67
	v_cmp_ge_f32_e64 s6, 0, v70
	v_add_nc_u32_e32 v70, 1, v68
	s_delay_alu instid0(VALU_DEP_2) | instskip(NEXT) | instid1(VALU_DEP_2)
	v_cndmask_b32_e64 v69, v68, v69, s6
	v_fma_f32 v68, -v70, v68, v67
	s_delay_alu instid0(VALU_DEP_1) | instskip(NEXT) | instid1(VALU_DEP_1)
	v_cmp_lt_f32_e64 s6, 0, v68
	v_cndmask_b32_e64 v68, v69, v70, s6
	s_delay_alu instid0(VALU_DEP_1) | instskip(NEXT) | instid1(VALU_DEP_1)
	v_mul_f32_e32 v69, 0x37800000, v68
	v_cndmask_b32_e32 v68, v68, v69, vcc_lo
	v_cmp_class_f32_e64 vcc_lo, v67, 0x260
	s_delay_alu instid0(VALU_DEP_2) | instskip(NEXT) | instid1(VALU_DEP_1)
	v_cndmask_b32_e32 v67, v68, v67, vcc_lo
	v_sub_f32_e32 v68, v67, v61
	v_fma_f32 v67, -v64, v67, 1.0
	s_delay_alu instid0(VALU_DEP_2) | instskip(SKIP_2) | instid1(VALU_DEP_1)
	v_cmp_gt_f32_e32 vcc_lo, 0, v68
	v_cmp_lt_f32_e64 s6, v68, v62
	v_cndmask_b32_e64 v69, 0, 0x42980000, vcc_lo
	v_fmac_f32_e32 v150, v67, v69
	v_fma_f32 v67, -v63, v68, 1.0
	s_delay_alu instid0(VALU_DEP_4) | instskip(SKIP_1) | instid1(VALU_DEP_3)
	v_cndmask_b32_e64 v69, 0, 1.0, s6
	v_cmp_lt_f32_e64 s6, v68, v179
	v_cndmask_b32_e64 v67, v67, 1.0, vcc_lo
	s_delay_alu instid0(VALU_DEP_2) | instskip(NEXT) | instid1(VALU_DEP_1)
	s_and_b32 s6, s5, s6
	v_mul_f32_e32 v67, v69, v67
	scratch_load_b32 v69, off, off offset:3664 ; 4-byte Folded Reload
	v_mul_f32_e32 v67, v66, v67
	s_delay_alu instid0(VALU_DEP_1) | instskip(NEXT) | instid1(VALU_DEP_1)
	v_cndmask_b32_e64 v67, v67, -|v67|, s23
	v_fmac_f32_e32 v150, 0x42340000, v67
	v_fma_f32 v67, -v65, v68, 1.0
	v_cndmask_b32_e64 v68, 0, 1.0, s6
	s_delay_alu instid0(VALU_DEP_2) | instskip(NEXT) | instid1(VALU_DEP_2)
	v_cndmask_b32_e64 v67, v67, 1.0, vcc_lo
	v_mul_f32_e32 v68, v132, v68
	s_delay_alu instid0(VALU_DEP_1)
	v_fmac_f32_e32 v150, v67, v68
	s_clause 0x1
	scratch_load_b32 v67, off, off offset:3656
	scratch_load_b32 v68, off, off offset:3660
	s_waitcnt vmcnt(2)
	v_sub_f32_e32 v69, v69, v178
	s_waitcnt vmcnt(0)
	v_dual_sub_f32 v67, v67, v176 :: v_dual_sub_f32 v68, v68, v177
	s_delay_alu instid0(VALU_DEP_1) | instskip(NEXT) | instid1(VALU_DEP_1)
	v_mul_f32_e32 v68, v68, v68
	v_fmac_f32_e32 v68, v67, v67
	s_delay_alu instid0(VALU_DEP_1) | instskip(NEXT) | instid1(VALU_DEP_1)
	v_fmac_f32_e32 v68, v69, v69
	v_cmp_gt_f32_e32 vcc_lo, 0xf800000, v68
	v_mul_f32_e32 v67, 0x4f800000, v68
	s_delay_alu instid0(VALU_DEP_1) | instskip(NEXT) | instid1(VALU_DEP_1)
	v_cndmask_b32_e32 v67, v68, v67, vcc_lo
	v_sqrt_f32_e32 v68, v67
	s_waitcnt_depctr 0xfff
	v_add_nc_u32_e32 v69, -1, v68
	s_delay_alu instid0(VALU_DEP_1) | instskip(NEXT) | instid1(VALU_DEP_1)
	v_fma_f32 v70, -v69, v68, v67
	v_cmp_ge_f32_e64 s6, 0, v70
	v_add_nc_u32_e32 v70, 1, v68
	s_delay_alu instid0(VALU_DEP_2) | instskip(NEXT) | instid1(VALU_DEP_2)
	v_cndmask_b32_e64 v69, v68, v69, s6
	v_fma_f32 v68, -v70, v68, v67
	s_delay_alu instid0(VALU_DEP_1) | instskip(NEXT) | instid1(VALU_DEP_1)
	v_cmp_lt_f32_e64 s6, 0, v68
	v_cndmask_b32_e64 v68, v69, v70, s6
	s_delay_alu instid0(VALU_DEP_1) | instskip(NEXT) | instid1(VALU_DEP_1)
	v_mul_f32_e32 v69, 0x37800000, v68
	v_cndmask_b32_e32 v68, v68, v69, vcc_lo
	v_cmp_class_f32_e64 vcc_lo, v67, 0x260
	s_delay_alu instid0(VALU_DEP_2) | instskip(NEXT) | instid1(VALU_DEP_1)
	v_cndmask_b32_e32 v67, v68, v67, vcc_lo
	v_sub_f32_e32 v68, v67, v61
	v_fma_f32 v67, -v64, v67, 1.0
	s_delay_alu instid0(VALU_DEP_2) | instskip(SKIP_2) | instid1(VALU_DEP_1)
	v_cmp_gt_f32_e32 vcc_lo, 0, v68
	v_cmp_lt_f32_e64 s6, v68, v62
	v_cndmask_b32_e64 v69, 0, 0x42980000, vcc_lo
	v_fmac_f32_e32 v151, v67, v69
	v_fma_f32 v67, -v63, v68, 1.0
	s_delay_alu instid0(VALU_DEP_4) | instskip(SKIP_1) | instid1(VALU_DEP_3)
	v_cndmask_b32_e64 v69, 0, 1.0, s6
	v_cmp_lt_f32_e64 s6, v68, v179
	v_cndmask_b32_e64 v67, v67, 1.0, vcc_lo
	s_delay_alu instid0(VALU_DEP_2) | instskip(NEXT) | instid1(VALU_DEP_1)
	s_and_b32 s6, s5, s6
	v_mul_f32_e32 v67, v69, v67
	v_sub_f32_e32 v69, v72, v178
	s_delay_alu instid0(VALU_DEP_2) | instskip(NEXT) | instid1(VALU_DEP_1)
	v_mul_f32_e32 v67, v66, v67
	v_cndmask_b32_e64 v67, v67, -|v67|, s23
	s_delay_alu instid0(VALU_DEP_1) | instskip(SKIP_2) | instid1(VALU_DEP_2)
	v_fmac_f32_e32 v151, 0x42340000, v67
	v_fma_f32 v67, -v65, v68, 1.0
	v_cndmask_b32_e64 v68, 0, 1.0, s6
	v_cndmask_b32_e64 v67, v67, 1.0, vcc_lo
	s_delay_alu instid0(VALU_DEP_2) | instskip(NEXT) | instid1(VALU_DEP_1)
	v_mul_f32_e32 v68, v132, v68
	v_fmac_f32_e32 v151, v67, v68
	s_clause 0x1
	scratch_load_b32 v67, off, off offset:3668
	scratch_load_b32 v68, off, off offset:3672
	s_waitcnt vmcnt(0)
	v_dual_sub_f32 v67, v67, v176 :: v_dual_sub_f32 v68, v68, v177
	s_delay_alu instid0(VALU_DEP_1) | instskip(NEXT) | instid1(VALU_DEP_1)
	v_mul_f32_e32 v68, v68, v68
	v_fmac_f32_e32 v68, v67, v67
	s_delay_alu instid0(VALU_DEP_1) | instskip(NEXT) | instid1(VALU_DEP_1)
	v_fmac_f32_e32 v68, v69, v69
	v_cmp_gt_f32_e32 vcc_lo, 0xf800000, v68
	v_mul_f32_e32 v67, 0x4f800000, v68
	s_delay_alu instid0(VALU_DEP_1) | instskip(NEXT) | instid1(VALU_DEP_1)
	v_cndmask_b32_e32 v67, v68, v67, vcc_lo
	v_sqrt_f32_e32 v68, v67
	s_waitcnt_depctr 0xfff
	v_add_nc_u32_e32 v69, -1, v68
	s_delay_alu instid0(VALU_DEP_1) | instskip(NEXT) | instid1(VALU_DEP_1)
	v_fma_f32 v70, -v69, v68, v67
	v_cmp_ge_f32_e64 s6, 0, v70
	v_add_nc_u32_e32 v70, 1, v68
	s_delay_alu instid0(VALU_DEP_2) | instskip(NEXT) | instid1(VALU_DEP_2)
	v_cndmask_b32_e64 v69, v68, v69, s6
	v_fma_f32 v68, -v70, v68, v67
	s_delay_alu instid0(VALU_DEP_1) | instskip(NEXT) | instid1(VALU_DEP_1)
	v_cmp_lt_f32_e64 s6, 0, v68
	v_cndmask_b32_e64 v68, v69, v70, s6
	s_delay_alu instid0(VALU_DEP_1) | instskip(NEXT) | instid1(VALU_DEP_1)
	v_mul_f32_e32 v69, 0x37800000, v68
	v_cndmask_b32_e32 v68, v68, v69, vcc_lo
	v_cmp_class_f32_e64 vcc_lo, v67, 0x260
	s_delay_alu instid0(VALU_DEP_2) | instskip(NEXT) | instid1(VALU_DEP_1)
	v_cndmask_b32_e32 v67, v68, v67, vcc_lo
	v_sub_f32_e32 v68, v67, v61
	v_fma_f32 v67, -v64, v67, 1.0
	s_delay_alu instid0(VALU_DEP_2) | instskip(SKIP_2) | instid1(VALU_DEP_1)
	v_cmp_gt_f32_e32 vcc_lo, 0, v68
	v_cmp_lt_f32_e64 s6, v68, v62
	v_cndmask_b32_e64 v69, 0, 0x42980000, vcc_lo
	v_fmac_f32_e32 v144, v67, v69
	v_fma_f32 v67, -v63, v68, 1.0
	s_delay_alu instid0(VALU_DEP_4) | instskip(SKIP_1) | instid1(VALU_DEP_3)
	v_cndmask_b32_e64 v69, 0, 1.0, s6
	v_cmp_lt_f32_e64 s6, v68, v179
	v_cndmask_b32_e64 v67, v67, 1.0, vcc_lo
	s_delay_alu instid0(VALU_DEP_2) | instskip(NEXT) | instid1(VALU_DEP_1)
	s_and_b32 s6, s5, s6
	v_mul_f32_e32 v67, v69, v67
	v_sub_f32_e32 v69, v75, v178
	s_delay_alu instid0(VALU_DEP_2) | instskip(NEXT) | instid1(VALU_DEP_1)
	v_mul_f32_e32 v67, v66, v67
	v_cndmask_b32_e64 v67, v67, -|v67|, s23
	s_delay_alu instid0(VALU_DEP_1) | instskip(SKIP_2) | instid1(VALU_DEP_2)
	v_fmac_f32_e32 v144, 0x42340000, v67
	v_fma_f32 v67, -v65, v68, 1.0
	v_cndmask_b32_e64 v68, 0, 1.0, s6
	v_cndmask_b32_e64 v67, v67, 1.0, vcc_lo
	s_delay_alu instid0(VALU_DEP_2) | instskip(NEXT) | instid1(VALU_DEP_1)
	v_mul_f32_e32 v68, v132, v68
	v_fmac_f32_e32 v144, v67, v68
	v_dual_sub_f32 v68, v74, v177 :: v_dual_sub_f32 v67, v73, v176
	s_delay_alu instid0(VALU_DEP_1) | instskip(NEXT) | instid1(VALU_DEP_1)
	v_mul_f32_e32 v68, v68, v68
	v_fmac_f32_e32 v68, v67, v67
	s_delay_alu instid0(VALU_DEP_1) | instskip(NEXT) | instid1(VALU_DEP_1)
	v_fmac_f32_e32 v68, v69, v69
	v_cmp_gt_f32_e32 vcc_lo, 0xf800000, v68
	v_mul_f32_e32 v67, 0x4f800000, v68
	s_delay_alu instid0(VALU_DEP_1) | instskip(NEXT) | instid1(VALU_DEP_1)
	v_cndmask_b32_e32 v67, v68, v67, vcc_lo
	v_sqrt_f32_e32 v68, v67
	s_waitcnt_depctr 0xfff
	v_add_nc_u32_e32 v69, -1, v68
	s_delay_alu instid0(VALU_DEP_1) | instskip(NEXT) | instid1(VALU_DEP_1)
	v_fma_f32 v70, -v69, v68, v67
	v_cmp_ge_f32_e64 s6, 0, v70
	v_add_nc_u32_e32 v70, 1, v68
	s_delay_alu instid0(VALU_DEP_2) | instskip(NEXT) | instid1(VALU_DEP_2)
	v_cndmask_b32_e64 v69, v68, v69, s6
	v_fma_f32 v68, -v70, v68, v67
	s_delay_alu instid0(VALU_DEP_1) | instskip(NEXT) | instid1(VALU_DEP_1)
	v_cmp_lt_f32_e64 s6, 0, v68
	v_cndmask_b32_e64 v68, v69, v70, s6
	s_delay_alu instid0(VALU_DEP_1) | instskip(NEXT) | instid1(VALU_DEP_1)
	v_mul_f32_e32 v69, 0x37800000, v68
	v_cndmask_b32_e32 v68, v68, v69, vcc_lo
	v_cmp_class_f32_e64 vcc_lo, v67, 0x260
	s_delay_alu instid0(VALU_DEP_2) | instskip(NEXT) | instid1(VALU_DEP_1)
	v_cndmask_b32_e32 v67, v68, v67, vcc_lo
	v_sub_f32_e32 v68, v67, v61
	v_fma_f32 v67, -v64, v67, 1.0
	s_delay_alu instid0(VALU_DEP_2) | instskip(SKIP_2) | instid1(VALU_DEP_1)
	v_cmp_gt_f32_e32 vcc_lo, 0, v68
	v_cmp_lt_f32_e64 s6, v68, v62
	v_cndmask_b32_e64 v69, 0, 0x42980000, vcc_lo
	v_fmac_f32_e32 v145, v67, v69
	v_fma_f32 v67, -v63, v68, 1.0
	s_delay_alu instid0(VALU_DEP_4) | instskip(SKIP_1) | instid1(VALU_DEP_3)
	v_cndmask_b32_e64 v69, 0, 1.0, s6
	v_cmp_lt_f32_e64 s6, v68, v179
	v_cndmask_b32_e64 v67, v67, 1.0, vcc_lo
	s_delay_alu instid0(VALU_DEP_2) | instskip(NEXT) | instid1(VALU_DEP_1)
	s_and_b32 s6, s5, s6
	v_mul_f32_e32 v67, v69, v67
	v_sub_f32_e32 v69, v78, v178
	s_delay_alu instid0(VALU_DEP_2) | instskip(NEXT) | instid1(VALU_DEP_1)
	v_mul_f32_e32 v67, v66, v67
	v_cndmask_b32_e64 v67, v67, -|v67|, s23
	s_delay_alu instid0(VALU_DEP_1) | instskip(SKIP_2) | instid1(VALU_DEP_2)
	v_fmac_f32_e32 v145, 0x42340000, v67
	v_fma_f32 v67, -v65, v68, 1.0
	v_cndmask_b32_e64 v68, 0, 1.0, s6
	v_cndmask_b32_e64 v67, v67, 1.0, vcc_lo
	s_delay_alu instid0(VALU_DEP_2) | instskip(NEXT) | instid1(VALU_DEP_1)
	v_mul_f32_e32 v68, v132, v68
	v_dual_fmac_f32 v145, v67, v68 :: v_dual_sub_f32 v68, v77, v177
	v_sub_f32_e32 v67, v76, v176
	s_delay_alu instid0(VALU_DEP_2) | instskip(NEXT) | instid1(VALU_DEP_1)
	v_mul_f32_e32 v68, v68, v68
	v_fmac_f32_e32 v68, v67, v67
	s_delay_alu instid0(VALU_DEP_1) | instskip(NEXT) | instid1(VALU_DEP_1)
	v_fmac_f32_e32 v68, v69, v69
	v_cmp_gt_f32_e32 vcc_lo, 0xf800000, v68
	v_mul_f32_e32 v67, 0x4f800000, v68
	s_delay_alu instid0(VALU_DEP_1) | instskip(NEXT) | instid1(VALU_DEP_1)
	v_cndmask_b32_e32 v67, v68, v67, vcc_lo
	v_sqrt_f32_e32 v68, v67
	s_waitcnt_depctr 0xfff
	v_add_nc_u32_e32 v69, -1, v68
	s_delay_alu instid0(VALU_DEP_1) | instskip(NEXT) | instid1(VALU_DEP_1)
	v_fma_f32 v70, -v69, v68, v67
	v_cmp_ge_f32_e64 s6, 0, v70
	v_add_nc_u32_e32 v70, 1, v68
	s_delay_alu instid0(VALU_DEP_2) | instskip(NEXT) | instid1(VALU_DEP_2)
	v_cndmask_b32_e64 v69, v68, v69, s6
	v_fma_f32 v68, -v70, v68, v67
	s_delay_alu instid0(VALU_DEP_1) | instskip(NEXT) | instid1(VALU_DEP_1)
	v_cmp_lt_f32_e64 s6, 0, v68
	v_cndmask_b32_e64 v68, v69, v70, s6
	s_delay_alu instid0(VALU_DEP_1) | instskip(NEXT) | instid1(VALU_DEP_1)
	v_mul_f32_e32 v69, 0x37800000, v68
	v_cndmask_b32_e32 v68, v68, v69, vcc_lo
	v_cmp_class_f32_e64 vcc_lo, v67, 0x260
	s_delay_alu instid0(VALU_DEP_2) | instskip(NEXT) | instid1(VALU_DEP_1)
	v_cndmask_b32_e32 v67, v68, v67, vcc_lo
	v_sub_f32_e32 v68, v67, v61
	v_fma_f32 v67, -v64, v67, 1.0
	s_delay_alu instid0(VALU_DEP_2) | instskip(SKIP_2) | instid1(VALU_DEP_1)
	v_cmp_gt_f32_e32 vcc_lo, 0, v68
	v_cmp_lt_f32_e64 s6, v68, v62
	v_cndmask_b32_e64 v69, 0, 0x42980000, vcc_lo
	v_fmac_f32_e32 v146, v67, v69
	v_fma_f32 v67, -v63, v68, 1.0
	s_delay_alu instid0(VALU_DEP_4) | instskip(SKIP_1) | instid1(VALU_DEP_3)
	v_cndmask_b32_e64 v69, 0, 1.0, s6
	v_cmp_lt_f32_e64 s6, v68, v179
	v_cndmask_b32_e64 v67, v67, 1.0, vcc_lo
	s_delay_alu instid0(VALU_DEP_2) | instskip(NEXT) | instid1(VALU_DEP_1)
	s_and_b32 s6, s5, s6
	v_mul_f32_e32 v67, v69, v67
	v_sub_f32_e32 v69, v81, v178
	s_delay_alu instid0(VALU_DEP_2) | instskip(NEXT) | instid1(VALU_DEP_1)
	v_mul_f32_e32 v67, v66, v67
	v_cndmask_b32_e64 v67, v67, -|v67|, s23
	s_delay_alu instid0(VALU_DEP_1) | instskip(SKIP_2) | instid1(VALU_DEP_2)
	v_fmac_f32_e32 v146, 0x42340000, v67
	v_fma_f32 v67, -v65, v68, 1.0
	v_cndmask_b32_e64 v68, 0, 1.0, s6
	v_cndmask_b32_e64 v67, v67, 1.0, vcc_lo
	s_delay_alu instid0(VALU_DEP_2) | instskip(NEXT) | instid1(VALU_DEP_1)
	v_mul_f32_e32 v68, v132, v68
	v_fmac_f32_e32 v146, v67, v68
	v_dual_sub_f32 v68, v80, v177 :: v_dual_sub_f32 v67, v79, v176
	s_delay_alu instid0(VALU_DEP_1) | instskip(NEXT) | instid1(VALU_DEP_1)
	v_mul_f32_e32 v68, v68, v68
	v_fmac_f32_e32 v68, v67, v67
	s_delay_alu instid0(VALU_DEP_1) | instskip(NEXT) | instid1(VALU_DEP_1)
	v_fmac_f32_e32 v68, v69, v69
	v_cmp_gt_f32_e32 vcc_lo, 0xf800000, v68
	v_mul_f32_e32 v67, 0x4f800000, v68
	s_delay_alu instid0(VALU_DEP_1) | instskip(NEXT) | instid1(VALU_DEP_1)
	v_cndmask_b32_e32 v67, v68, v67, vcc_lo
	v_sqrt_f32_e32 v68, v67
	s_waitcnt_depctr 0xfff
	v_add_nc_u32_e32 v69, -1, v68
	s_delay_alu instid0(VALU_DEP_1) | instskip(NEXT) | instid1(VALU_DEP_1)
	v_fma_f32 v70, -v69, v68, v67
	v_cmp_ge_f32_e64 s6, 0, v70
	v_add_nc_u32_e32 v70, 1, v68
	s_delay_alu instid0(VALU_DEP_2) | instskip(NEXT) | instid1(VALU_DEP_2)
	v_cndmask_b32_e64 v69, v68, v69, s6
	v_fma_f32 v68, -v70, v68, v67
	s_delay_alu instid0(VALU_DEP_1) | instskip(NEXT) | instid1(VALU_DEP_1)
	v_cmp_lt_f32_e64 s6, 0, v68
	v_cndmask_b32_e64 v68, v69, v70, s6
	s_delay_alu instid0(VALU_DEP_1) | instskip(NEXT) | instid1(VALU_DEP_1)
	v_mul_f32_e32 v69, 0x37800000, v68
	v_cndmask_b32_e32 v68, v68, v69, vcc_lo
	v_cmp_class_f32_e64 vcc_lo, v67, 0x260
	s_delay_alu instid0(VALU_DEP_2) | instskip(NEXT) | instid1(VALU_DEP_1)
	v_cndmask_b32_e32 v67, v68, v67, vcc_lo
	v_sub_f32_e32 v68, v67, v61
	v_fma_f32 v67, -v64, v67, 1.0
	s_delay_alu instid0(VALU_DEP_2) | instskip(SKIP_2) | instid1(VALU_DEP_1)
	v_cmp_gt_f32_e32 vcc_lo, 0, v68
	v_cmp_lt_f32_e64 s6, v68, v62
	v_cndmask_b32_e64 v69, 0, 0x42980000, vcc_lo
	v_fmac_f32_e32 v147, v67, v69
	v_fma_f32 v67, -v63, v68, 1.0
	s_delay_alu instid0(VALU_DEP_4) | instskip(SKIP_1) | instid1(VALU_DEP_3)
	v_cndmask_b32_e64 v69, 0, 1.0, s6
	v_cmp_lt_f32_e64 s6, v68, v179
	v_cndmask_b32_e64 v67, v67, 1.0, vcc_lo
	s_delay_alu instid0(VALU_DEP_2) | instskip(NEXT) | instid1(VALU_DEP_1)
	s_and_b32 s6, s5, s6
	v_mul_f32_e32 v67, v69, v67
	v_sub_f32_e32 v69, v84, v178
	s_delay_alu instid0(VALU_DEP_2) | instskip(NEXT) | instid1(VALU_DEP_1)
	v_mul_f32_e32 v67, v66, v67
	v_cndmask_b32_e64 v67, v67, -|v67|, s23
	s_delay_alu instid0(VALU_DEP_1) | instskip(SKIP_2) | instid1(VALU_DEP_2)
	v_fmac_f32_e32 v147, 0x42340000, v67
	v_fma_f32 v67, -v65, v68, 1.0
	v_cndmask_b32_e64 v68, 0, 1.0, s6
	v_cndmask_b32_e64 v67, v67, 1.0, vcc_lo
	s_delay_alu instid0(VALU_DEP_2) | instskip(NEXT) | instid1(VALU_DEP_1)
	v_mul_f32_e32 v68, v132, v68
	v_fmac_f32_e32 v147, v67, v68
	v_dual_sub_f32 v68, v83, v177 :: v_dual_sub_f32 v67, v82, v176
	s_delay_alu instid0(VALU_DEP_1) | instskip(NEXT) | instid1(VALU_DEP_1)
	;; [unrolled: 56-line block ×3, first 2 shown]
	v_mul_f32_e32 v68, v68, v68
	v_fmac_f32_e32 v68, v67, v67
	s_delay_alu instid0(VALU_DEP_1) | instskip(NEXT) | instid1(VALU_DEP_1)
	v_fmac_f32_e32 v68, v69, v69
	v_cmp_gt_f32_e32 vcc_lo, 0xf800000, v68
	v_mul_f32_e32 v67, 0x4f800000, v68
	s_delay_alu instid0(VALU_DEP_1) | instskip(NEXT) | instid1(VALU_DEP_1)
	v_cndmask_b32_e32 v67, v68, v67, vcc_lo
	v_sqrt_f32_e32 v68, v67
	s_waitcnt_depctr 0xfff
	v_add_nc_u32_e32 v69, -1, v68
	s_delay_alu instid0(VALU_DEP_1) | instskip(NEXT) | instid1(VALU_DEP_1)
	v_fma_f32 v70, -v69, v68, v67
	v_cmp_ge_f32_e64 s6, 0, v70
	v_add_nc_u32_e32 v70, 1, v68
	s_delay_alu instid0(VALU_DEP_2) | instskip(NEXT) | instid1(VALU_DEP_2)
	v_cndmask_b32_e64 v69, v68, v69, s6
	v_fma_f32 v68, -v70, v68, v67
	s_delay_alu instid0(VALU_DEP_1) | instskip(NEXT) | instid1(VALU_DEP_1)
	v_cmp_lt_f32_e64 s6, 0, v68
	v_cndmask_b32_e64 v68, v69, v70, s6
	s_delay_alu instid0(VALU_DEP_1) | instskip(NEXT) | instid1(VALU_DEP_1)
	v_mul_f32_e32 v69, 0x37800000, v68
	v_cndmask_b32_e32 v68, v68, v69, vcc_lo
	v_cmp_class_f32_e64 vcc_lo, v67, 0x260
	s_delay_alu instid0(VALU_DEP_2) | instskip(NEXT) | instid1(VALU_DEP_1)
	v_cndmask_b32_e32 v67, v68, v67, vcc_lo
	v_sub_f32_e32 v68, v67, v61
	v_fma_f32 v67, -v64, v67, 1.0
	s_delay_alu instid0(VALU_DEP_2) | instskip(SKIP_2) | instid1(VALU_DEP_1)
	v_cmp_gt_f32_e32 vcc_lo, 0, v68
	v_cmp_lt_f32_e64 s6, v68, v62
	v_cndmask_b32_e64 v69, 0, 0x42980000, vcc_lo
	v_fmac_f32_e32 v141, v67, v69
	v_fma_f32 v67, -v63, v68, 1.0
	s_delay_alu instid0(VALU_DEP_4) | instskip(SKIP_1) | instid1(VALU_DEP_3)
	v_cndmask_b32_e64 v69, 0, 1.0, s6
	v_cmp_lt_f32_e64 s6, v68, v179
	v_cndmask_b32_e64 v67, v67, 1.0, vcc_lo
	s_delay_alu instid0(VALU_DEP_2) | instskip(NEXT) | instid1(VALU_DEP_1)
	s_and_b32 s6, s5, s6
	v_mul_f32_e32 v67, v69, v67
	v_sub_f32_e32 v69, v90, v178
	s_delay_alu instid0(VALU_DEP_2) | instskip(NEXT) | instid1(VALU_DEP_1)
	v_mul_f32_e32 v67, v66, v67
	v_cndmask_b32_e64 v67, v67, -|v67|, s23
	s_delay_alu instid0(VALU_DEP_1) | instskip(SKIP_2) | instid1(VALU_DEP_2)
	v_fmac_f32_e32 v141, 0x42340000, v67
	v_fma_f32 v67, -v65, v68, 1.0
	v_cndmask_b32_e64 v68, 0, 1.0, s6
	v_cndmask_b32_e64 v67, v67, 1.0, vcc_lo
	s_delay_alu instid0(VALU_DEP_2) | instskip(NEXT) | instid1(VALU_DEP_1)
	v_mul_f32_e32 v68, v132, v68
	v_dual_fmac_f32 v141, v67, v68 :: v_dual_sub_f32 v68, v89, v177
	v_sub_f32_e32 v67, v88, v176
	s_delay_alu instid0(VALU_DEP_2) | instskip(NEXT) | instid1(VALU_DEP_1)
	v_mul_f32_e32 v68, v68, v68
	v_fmac_f32_e32 v68, v67, v67
	s_delay_alu instid0(VALU_DEP_1) | instskip(NEXT) | instid1(VALU_DEP_1)
	v_fmac_f32_e32 v68, v69, v69
	v_cmp_gt_f32_e32 vcc_lo, 0xf800000, v68
	v_mul_f32_e32 v67, 0x4f800000, v68
	s_delay_alu instid0(VALU_DEP_1) | instskip(NEXT) | instid1(VALU_DEP_1)
	v_cndmask_b32_e32 v67, v68, v67, vcc_lo
	v_sqrt_f32_e32 v68, v67
	s_waitcnt_depctr 0xfff
	v_add_nc_u32_e32 v69, -1, v68
	s_delay_alu instid0(VALU_DEP_1) | instskip(NEXT) | instid1(VALU_DEP_1)
	v_fma_f32 v70, -v69, v68, v67
	v_cmp_ge_f32_e64 s6, 0, v70
	v_add_nc_u32_e32 v70, 1, v68
	s_delay_alu instid0(VALU_DEP_2) | instskip(NEXT) | instid1(VALU_DEP_2)
	v_cndmask_b32_e64 v69, v68, v69, s6
	v_fma_f32 v68, -v70, v68, v67
	s_delay_alu instid0(VALU_DEP_1) | instskip(NEXT) | instid1(VALU_DEP_1)
	v_cmp_lt_f32_e64 s6, 0, v68
	v_cndmask_b32_e64 v68, v69, v70, s6
	s_delay_alu instid0(VALU_DEP_1) | instskip(NEXT) | instid1(VALU_DEP_1)
	v_mul_f32_e32 v69, 0x37800000, v68
	v_cndmask_b32_e32 v68, v68, v69, vcc_lo
	v_cmp_class_f32_e64 vcc_lo, v67, 0x260
	s_delay_alu instid0(VALU_DEP_2) | instskip(NEXT) | instid1(VALU_DEP_1)
	v_cndmask_b32_e32 v67, v68, v67, vcc_lo
	v_sub_f32_e32 v68, v67, v61
	v_fma_f32 v67, -v64, v67, 1.0
	s_delay_alu instid0(VALU_DEP_2) | instskip(SKIP_2) | instid1(VALU_DEP_1)
	v_cmp_gt_f32_e32 vcc_lo, 0, v68
	v_cmp_lt_f32_e64 s6, v68, v62
	v_cndmask_b32_e64 v69, 0, 0x42980000, vcc_lo
	v_fmac_f32_e32 v142, v67, v69
	v_fma_f32 v67, -v63, v68, 1.0
	s_delay_alu instid0(VALU_DEP_4) | instskip(SKIP_1) | instid1(VALU_DEP_3)
	v_cndmask_b32_e64 v69, 0, 1.0, s6
	v_cmp_lt_f32_e64 s6, v68, v179
	v_cndmask_b32_e64 v67, v67, 1.0, vcc_lo
	s_delay_alu instid0(VALU_DEP_2) | instskip(NEXT) | instid1(VALU_DEP_1)
	s_and_b32 s6, s5, s6
	v_mul_f32_e32 v67, v69, v67
	v_sub_f32_e32 v69, v93, v178
	s_delay_alu instid0(VALU_DEP_2) | instskip(NEXT) | instid1(VALU_DEP_1)
	v_mul_f32_e32 v67, v66, v67
	v_cndmask_b32_e64 v67, v67, -|v67|, s23
	s_delay_alu instid0(VALU_DEP_1) | instskip(SKIP_2) | instid1(VALU_DEP_2)
	v_fmac_f32_e32 v142, 0x42340000, v67
	v_fma_f32 v67, -v65, v68, 1.0
	v_cndmask_b32_e64 v68, 0, 1.0, s6
	v_cndmask_b32_e64 v67, v67, 1.0, vcc_lo
	s_delay_alu instid0(VALU_DEP_2) | instskip(NEXT) | instid1(VALU_DEP_1)
	v_mul_f32_e32 v68, v132, v68
	v_fmac_f32_e32 v142, v67, v68
	v_dual_sub_f32 v68, v92, v177 :: v_dual_sub_f32 v67, v91, v176
	s_delay_alu instid0(VALU_DEP_1) | instskip(NEXT) | instid1(VALU_DEP_1)
	v_mul_f32_e32 v68, v68, v68
	v_fmac_f32_e32 v68, v67, v67
	s_delay_alu instid0(VALU_DEP_1) | instskip(NEXT) | instid1(VALU_DEP_1)
	v_fmac_f32_e32 v68, v69, v69
	v_cmp_gt_f32_e32 vcc_lo, 0xf800000, v68
	v_mul_f32_e32 v67, 0x4f800000, v68
	s_delay_alu instid0(VALU_DEP_1) | instskip(NEXT) | instid1(VALU_DEP_1)
	v_cndmask_b32_e32 v67, v68, v67, vcc_lo
	v_sqrt_f32_e32 v68, v67
	s_waitcnt_depctr 0xfff
	v_add_nc_u32_e32 v69, -1, v68
	s_delay_alu instid0(VALU_DEP_1) | instskip(NEXT) | instid1(VALU_DEP_1)
	v_fma_f32 v70, -v69, v68, v67
	v_cmp_ge_f32_e64 s6, 0, v70
	v_add_nc_u32_e32 v70, 1, v68
	s_delay_alu instid0(VALU_DEP_2) | instskip(NEXT) | instid1(VALU_DEP_2)
	v_cndmask_b32_e64 v69, v68, v69, s6
	v_fma_f32 v68, -v70, v68, v67
	s_delay_alu instid0(VALU_DEP_1) | instskip(NEXT) | instid1(VALU_DEP_1)
	v_cmp_lt_f32_e64 s6, 0, v68
	v_cndmask_b32_e64 v68, v69, v70, s6
	s_delay_alu instid0(VALU_DEP_1) | instskip(NEXT) | instid1(VALU_DEP_1)
	v_mul_f32_e32 v69, 0x37800000, v68
	v_cndmask_b32_e32 v68, v68, v69, vcc_lo
	v_cmp_class_f32_e64 vcc_lo, v67, 0x260
	s_delay_alu instid0(VALU_DEP_2) | instskip(NEXT) | instid1(VALU_DEP_1)
	v_cndmask_b32_e32 v67, v68, v67, vcc_lo
	v_sub_f32_e32 v68, v67, v61
	v_fma_f32 v67, -v64, v67, 1.0
	s_delay_alu instid0(VALU_DEP_2) | instskip(SKIP_2) | instid1(VALU_DEP_1)
	v_cmp_gt_f32_e32 vcc_lo, 0, v68
	v_cmp_lt_f32_e64 s6, v68, v62
	v_cndmask_b32_e64 v69, 0, 0x42980000, vcc_lo
	v_fmac_f32_e32 v143, v67, v69
	v_fma_f32 v67, -v63, v68, 1.0
	s_delay_alu instid0(VALU_DEP_4) | instskip(SKIP_1) | instid1(VALU_DEP_3)
	v_cndmask_b32_e64 v69, 0, 1.0, s6
	v_cmp_lt_f32_e64 s6, v68, v179
	v_cndmask_b32_e64 v67, v67, 1.0, vcc_lo
	s_delay_alu instid0(VALU_DEP_2) | instskip(NEXT) | instid1(VALU_DEP_1)
	s_and_b32 s6, s5, s6
	v_mul_f32_e32 v67, v69, v67
	v_sub_f32_e32 v69, v96, v178
	s_delay_alu instid0(VALU_DEP_2) | instskip(NEXT) | instid1(VALU_DEP_1)
	v_mul_f32_e32 v67, v66, v67
	v_cndmask_b32_e64 v67, v67, -|v67|, s23
	s_delay_alu instid0(VALU_DEP_1) | instskip(SKIP_2) | instid1(VALU_DEP_2)
	v_fmac_f32_e32 v143, 0x42340000, v67
	v_fma_f32 v67, -v65, v68, 1.0
	v_cndmask_b32_e64 v68, 0, 1.0, s6
	v_cndmask_b32_e64 v67, v67, 1.0, vcc_lo
	s_delay_alu instid0(VALU_DEP_2) | instskip(NEXT) | instid1(VALU_DEP_1)
	v_mul_f32_e32 v68, v132, v68
	v_fmac_f32_e32 v143, v67, v68
	v_dual_sub_f32 v68, v95, v177 :: v_dual_sub_f32 v67, v94, v176
	s_delay_alu instid0(VALU_DEP_1) | instskip(NEXT) | instid1(VALU_DEP_1)
	;; [unrolled: 56-line block ×3, first 2 shown]
	v_mul_f32_e32 v68, v68, v68
	v_fmac_f32_e32 v68, v67, v67
	s_delay_alu instid0(VALU_DEP_1) | instskip(NEXT) | instid1(VALU_DEP_1)
	v_fmac_f32_e32 v68, v69, v69
	v_cmp_gt_f32_e32 vcc_lo, 0xf800000, v68
	v_mul_f32_e32 v67, 0x4f800000, v68
	s_delay_alu instid0(VALU_DEP_1) | instskip(NEXT) | instid1(VALU_DEP_1)
	v_cndmask_b32_e32 v67, v68, v67, vcc_lo
	v_sqrt_f32_e32 v68, v67
	s_waitcnt_depctr 0xfff
	v_add_nc_u32_e32 v69, -1, v68
	s_delay_alu instid0(VALU_DEP_1) | instskip(NEXT) | instid1(VALU_DEP_1)
	v_fma_f32 v70, -v69, v68, v67
	v_cmp_ge_f32_e64 s6, 0, v70
	v_add_nc_u32_e32 v70, 1, v68
	s_delay_alu instid0(VALU_DEP_2) | instskip(NEXT) | instid1(VALU_DEP_2)
	v_cndmask_b32_e64 v69, v68, v69, s6
	v_fma_f32 v68, -v70, v68, v67
	s_delay_alu instid0(VALU_DEP_1) | instskip(NEXT) | instid1(VALU_DEP_1)
	v_cmp_lt_f32_e64 s6, 0, v68
	v_cndmask_b32_e64 v68, v69, v70, s6
	s_delay_alu instid0(VALU_DEP_1) | instskip(NEXT) | instid1(VALU_DEP_1)
	v_mul_f32_e32 v69, 0x37800000, v68
	v_cndmask_b32_e32 v68, v68, v69, vcc_lo
	v_cmp_class_f32_e64 vcc_lo, v67, 0x260
	s_delay_alu instid0(VALU_DEP_2) | instskip(NEXT) | instid1(VALU_DEP_1)
	v_cndmask_b32_e32 v67, v68, v67, vcc_lo
	v_sub_f32_e32 v68, v67, v61
	v_fma_f32 v67, -v64, v67, 1.0
	s_delay_alu instid0(VALU_DEP_2) | instskip(SKIP_2) | instid1(VALU_DEP_1)
	v_cmp_gt_f32_e32 vcc_lo, 0, v68
	v_cmp_lt_f32_e64 s6, v68, v62
	v_cndmask_b32_e64 v69, 0, 0x42980000, vcc_lo
	v_fmac_f32_e32 v137, v67, v69
	v_fma_f32 v67, -v63, v68, 1.0
	s_delay_alu instid0(VALU_DEP_4) | instskip(SKIP_1) | instid1(VALU_DEP_3)
	v_cndmask_b32_e64 v69, 0, 1.0, s6
	v_cmp_lt_f32_e64 s6, v68, v179
	v_cndmask_b32_e64 v67, v67, 1.0, vcc_lo
	s_delay_alu instid0(VALU_DEP_2) | instskip(NEXT) | instid1(VALU_DEP_1)
	s_and_b32 s6, s5, s6
	v_mul_f32_e32 v67, v69, v67
	v_sub_f32_e32 v69, v102, v178
	s_delay_alu instid0(VALU_DEP_2) | instskip(NEXT) | instid1(VALU_DEP_1)
	v_mul_f32_e32 v67, v66, v67
	v_cndmask_b32_e64 v67, v67, -|v67|, s23
	s_delay_alu instid0(VALU_DEP_1) | instskip(SKIP_2) | instid1(VALU_DEP_2)
	v_fmac_f32_e32 v137, 0x42340000, v67
	v_fma_f32 v67, -v65, v68, 1.0
	v_cndmask_b32_e64 v68, 0, 1.0, s6
	v_cndmask_b32_e64 v67, v67, 1.0, vcc_lo
	s_delay_alu instid0(VALU_DEP_2) | instskip(NEXT) | instid1(VALU_DEP_1)
	v_mul_f32_e32 v68, v132, v68
	v_dual_fmac_f32 v137, v67, v68 :: v_dual_sub_f32 v68, v101, v177
	v_sub_f32_e32 v67, v100, v176
	v_sub_f32_e32 v176, v103, v176
	s_delay_alu instid0(VALU_DEP_3) | instskip(NEXT) | instid1(VALU_DEP_1)
	v_mul_f32_e32 v68, v68, v68
	v_fmac_f32_e32 v68, v67, v67
	s_delay_alu instid0(VALU_DEP_1) | instskip(NEXT) | instid1(VALU_DEP_1)
	v_fmac_f32_e32 v68, v69, v69
	v_cmp_gt_f32_e32 vcc_lo, 0xf800000, v68
	v_mul_f32_e32 v67, 0x4f800000, v68
	s_delay_alu instid0(VALU_DEP_1) | instskip(NEXT) | instid1(VALU_DEP_1)
	v_cndmask_b32_e32 v67, v68, v67, vcc_lo
	v_sqrt_f32_e32 v68, v67
	s_waitcnt_depctr 0xfff
	v_add_nc_u32_e32 v69, -1, v68
	s_delay_alu instid0(VALU_DEP_1) | instskip(NEXT) | instid1(VALU_DEP_1)
	v_fma_f32 v70, -v69, v68, v67
	v_cmp_ge_f32_e64 s6, 0, v70
	v_add_nc_u32_e32 v70, 1, v68
	s_delay_alu instid0(VALU_DEP_2) | instskip(NEXT) | instid1(VALU_DEP_2)
	v_cndmask_b32_e64 v69, v68, v69, s6
	v_fma_f32 v68, -v70, v68, v67
	s_delay_alu instid0(VALU_DEP_1) | instskip(NEXT) | instid1(VALU_DEP_1)
	v_cmp_lt_f32_e64 s6, 0, v68
	v_cndmask_b32_e64 v68, v69, v70, s6
	s_delay_alu instid0(VALU_DEP_1) | instskip(NEXT) | instid1(VALU_DEP_1)
	v_mul_f32_e32 v69, 0x37800000, v68
	v_cndmask_b32_e32 v68, v68, v69, vcc_lo
	v_cmp_class_f32_e64 vcc_lo, v67, 0x260
	s_delay_alu instid0(VALU_DEP_2) | instskip(NEXT) | instid1(VALU_DEP_1)
	v_cndmask_b32_e32 v67, v68, v67, vcc_lo
	v_sub_f32_e32 v68, v67, v61
	v_fma_f32 v67, -v64, v67, 1.0
	s_delay_alu instid0(VALU_DEP_2) | instskip(SKIP_2) | instid1(VALU_DEP_1)
	v_cmp_gt_f32_e32 vcc_lo, 0, v68
	v_cmp_lt_f32_e64 s6, v68, v62
	v_cndmask_b32_e64 v69, 0, 0x42980000, vcc_lo
	v_fmac_f32_e32 v138, v67, v69
	v_fma_f32 v67, -v63, v68, 1.0
	s_delay_alu instid0(VALU_DEP_4) | instskip(SKIP_1) | instid1(VALU_DEP_3)
	v_cndmask_b32_e64 v69, 0, 1.0, s6
	v_cmp_lt_f32_e64 s6, v68, v179
	v_cndmask_b32_e64 v67, v67, 1.0, vcc_lo
	s_delay_alu instid0(VALU_DEP_2) | instskip(NEXT) | instid1(VALU_DEP_1)
	s_and_b32 s6, s5, s6
	v_mul_f32_e32 v67, v69, v67
	s_delay_alu instid0(VALU_DEP_1) | instskip(NEXT) | instid1(VALU_DEP_1)
	v_mul_f32_e32 v67, v66, v67
	v_cndmask_b32_e64 v67, v67, -|v67|, s23
	s_delay_alu instid0(VALU_DEP_1) | instskip(SKIP_2) | instid1(VALU_DEP_2)
	v_fmac_f32_e32 v138, 0x42340000, v67
	v_fma_f32 v67, -v65, v68, 1.0
	v_cndmask_b32_e64 v68, 0, 1.0, s6
	v_cndmask_b32_e64 v67, v67, 1.0, vcc_lo
	s_delay_alu instid0(VALU_DEP_2) | instskip(NEXT) | instid1(VALU_DEP_1)
	v_mul_f32_e32 v68, v132, v68
	v_dual_fmac_f32 v138, v67, v68 :: v_dual_sub_f32 v67, v104, v177
	v_sub_f32_e32 v177, v105, v178
	s_delay_alu instid0(VALU_DEP_2) | instskip(NEXT) | instid1(VALU_DEP_1)
	v_mul_f32_e32 v67, v67, v67
	v_fmac_f32_e32 v67, v176, v176
	s_delay_alu instid0(VALU_DEP_1) | instskip(NEXT) | instid1(VALU_DEP_1)
	v_fmac_f32_e32 v67, v177, v177
	v_cmp_gt_f32_e32 vcc_lo, 0xf800000, v67
	v_mul_f32_e32 v68, 0x4f800000, v67
	s_delay_alu instid0(VALU_DEP_1) | instskip(NEXT) | instid1(VALU_DEP_1)
	v_cndmask_b32_e32 v67, v67, v68, vcc_lo
	v_sqrt_f32_e32 v68, v67
	s_waitcnt_depctr 0xfff
	v_add_nc_u32_e32 v69, -1, v68
	s_delay_alu instid0(VALU_DEP_1) | instskip(NEXT) | instid1(VALU_DEP_1)
	v_fma_f32 v70, -v69, v68, v67
	v_cmp_ge_f32_e64 s6, 0, v70
	v_add_nc_u32_e32 v70, 1, v68
	s_delay_alu instid0(VALU_DEP_2) | instskip(NEXT) | instid1(VALU_DEP_2)
	v_cndmask_b32_e64 v69, v68, v69, s6
	v_fma_f32 v68, -v70, v68, v67
	s_delay_alu instid0(VALU_DEP_1) | instskip(NEXT) | instid1(VALU_DEP_1)
	v_cmp_lt_f32_e64 s6, 0, v68
	v_cndmask_b32_e64 v68, v69, v70, s6
	s_delay_alu instid0(VALU_DEP_1) | instskip(NEXT) | instid1(VALU_DEP_1)
	v_mul_f32_e32 v69, 0x37800000, v68
	v_cndmask_b32_e32 v68, v68, v69, vcc_lo
	v_cmp_class_f32_e64 vcc_lo, v67, 0x260
	s_delay_alu instid0(VALU_DEP_2) | instskip(NEXT) | instid1(VALU_DEP_1)
	v_cndmask_b32_e32 v68, v68, v67, vcc_lo
	v_sub_f32_e32 v67, v68, v61
	v_fma_f32 v61, -v64, v68, 1.0
	s_delay_alu instid0(VALU_DEP_2) | instskip(SKIP_2) | instid1(VALU_DEP_2)
	v_cmp_gt_f32_e32 vcc_lo, 0, v67
	v_cmp_lt_f32_e64 s6, v67, v62
	v_cndmask_b32_e64 v64, 0, 0x42980000, vcc_lo
	v_cndmask_b32_e64 v62, 0, 1.0, s6
	v_cmp_lt_f32_e64 s6, v67, v179
	s_delay_alu instid0(VALU_DEP_3) | instskip(SKIP_1) | instid1(VALU_DEP_3)
	v_fmac_f32_e32 v139, v61, v64
	v_fma_f32 v61, -v63, v67, 1.0
	s_and_b32 s5, s5, s6
	v_mov_b32_e32 v63, 0
	s_add_u32 s18, s18, 16
	s_addc_u32 s19, s19, 0
	v_cndmask_b32_e64 v61, v61, 1.0, vcc_lo
	s_add_i32 s22, s22, -1
	s_delay_alu instid0(SALU_CYCLE_1) | instskip(NEXT) | instid1(VALU_DEP_1)
	s_cmp_lg_u32 s22, 0
	v_mul_f32_e32 v61, v62, v61
	v_cndmask_b32_e64 v62, 0, 1.0, s5
	s_delay_alu instid0(VALU_DEP_1) | instskip(NEXT) | instid1(VALU_DEP_1)
	v_dual_mul_f32 v61, v66, v61 :: v_dual_mul_f32 v62, v132, v62
	v_cndmask_b32_e64 v61, v61, -|v61|, s23
	s_delay_alu instid0(VALU_DEP_1) | instskip(SKIP_1) | instid1(VALU_DEP_1)
	v_fmac_f32_e32 v139, 0x42340000, v61
	v_fma_f32 v61, -v65, v67, 1.0
	v_cndmask_b32_e64 v61, v61, 1.0, vcc_lo
	s_delay_alu instid0(VALU_DEP_1)
	v_fmac_f32_e32 v139, v61, v62
	s_cbranch_scc1 .LBB6_28
; %bb.29:                               ;   in Loop: Header=BB6_27 Depth=1
	s_add_i32 s16, s16, 1
	s_clause 0xb
	scratch_store_b128 off, v[128:131], off offset:16
	scratch_store_b128 off, v[124:127], off offset:32
	;; [unrolled: 1-line block ×12, first 2 shown]
	s_cmp_lg_u32 s16, s21
	s_clause 0x3
	scratch_store_b128 off, v[148:151], off offset:208
	scratch_store_b128 off, v[144:147], off offset:224
	scratch_store_b128 off, v[140:143], off offset:240
	scratch_store_b128 off, v[136:139], off offset:256
	s_cbranch_scc1 .LBB6_27
; %bb.30:
	s_and_saveexec_b32 s0, s2
	s_cbranch_execz .LBB6_32
; %bb.31:
	s_movk_i32 s0, 0x1314
	s_clause 0x4
	scratch_load_b128 v[0:3], off, off offset:100
	scratch_load_b128 v[4:7], off, off offset:116
	;; [unrolled: 1-line block ×5, first 2 shown]
	scratch_load_b64 v[81:82], off, s0      ; 8-byte Folded Reload
	s_clause 0x5
	scratch_load_b128 v[20:23], off, off offset:180
	scratch_load_b128 v[24:27], off, off offset:196
	;; [unrolled: 1-line block ×5, first 2 shown]
	scratch_load_b96 v[40:42], off, off offset:260
	s_waitcnt vmcnt(6)
	v_dual_mul_f32 v51, 0.5, v128 :: v_dual_mov_b32 v82, 0
	v_dual_mul_f32 v52, 0.5, v129 :: v_dual_mul_f32 v53, 0.5, v130
	v_dual_mul_f32 v54, 0.5, v131 :: v_dual_mul_f32 v55, 0.5, v124
	;; [unrolled: 1-line block ×10, first 2 shown]
	v_mul_f32_e32 v1, 0.5, v1
	v_mul_f32_e32 v3, 0.5, v3
	;; [unrolled: 1-line block ×5, first 2 shown]
	v_lshlrev_b64 v[43:44], 2, v[81:82]
	v_dual_mul_f32 v0, 0.5, v0 :: v_dual_add_nc_u32 v81, s7, v81
	v_mul_f32_e32 v11, 0.5, v11
	v_dual_mul_f32 v13, 0.5, v13 :: v_dual_mul_f32 v2, 0.5, v2
	s_delay_alu instid0(VALU_DEP_3) | instskip(SKIP_3) | instid1(VALU_DEP_3)
	v_lshlrev_b64 v[45:46], 2, v[81:82]
	v_add_nc_u32_e32 v81, s7, v81
	v_add_co_u32 v43, vcc_lo, s12, v43
	v_add_co_ci_u32_e32 v44, vcc_lo, s13, v44, vcc_lo
	v_lshlrev_b64 v[47:48], 2, v[81:82]
	v_dual_mul_f32 v4, 0.5, v4 :: v_dual_add_nc_u32 v81, s7, v81
	v_add_co_u32 v45, vcc_lo, s12, v45
	v_add_co_ci_u32_e32 v46, vcc_lo, s13, v46, vcc_lo
	s_delay_alu instid0(VALU_DEP_3)
	v_lshlrev_b64 v[49:50], 2, v[81:82]
	v_dual_mul_f32 v6, 0.5, v6 :: v_dual_add_nc_u32 v81, s7, v81
	v_add_co_u32 v47, vcc_lo, s12, v47
	v_add_co_ci_u32_e32 v48, vcc_lo, s13, v48, vcc_lo
	s_clause 0x1
	global_store_b32 v[43:44], v51, off
	global_store_b32 v[45:46], v52, off
	v_lshlrev_b64 v[43:44], 2, v[81:82]
	v_dual_mul_f32 v8, 0.5, v8 :: v_dual_add_nc_u32 v81, s7, v81
	global_store_b32 v[47:48], v53, off
	v_add_co_u32 v45, vcc_lo, s12, v49
	v_lshlrev_b64 v[47:48], 2, v[81:82]
	v_dual_mul_f32 v10, 0.5, v10 :: v_dual_add_nc_u32 v81, s7, v81
	v_add_co_ci_u32_e32 v46, vcc_lo, s13, v50, vcc_lo
	v_add_co_u32 v43, vcc_lo, s12, v43
	s_delay_alu instid0(VALU_DEP_3)
	v_lshlrev_b64 v[49:50], 2, v[81:82]
	v_dual_mul_f32 v12, 0.5, v12 :: v_dual_add_nc_u32 v81, s7, v81
	v_add_co_ci_u32_e32 v44, vcc_lo, s13, v44, vcc_lo
	v_add_co_u32 v47, vcc_lo, s12, v47
	v_add_co_ci_u32_e32 v48, vcc_lo, s13, v48, vcc_lo
	s_clause 0x1
	global_store_b32 v[45:46], v54, off
	global_store_b32 v[43:44], v55, off
	v_lshlrev_b64 v[43:44], 2, v[81:82]
	v_dual_mul_f32 v14, 0.5, v14 :: v_dual_add_nc_u32 v81, s7, v81
	global_store_b32 v[47:48], v56, off
	v_add_co_u32 v45, vcc_lo, s12, v49
	v_lshlrev_b64 v[47:48], 2, v[81:82]
	v_dual_mul_f32 v16, 0.5, v16 :: v_dual_add_nc_u32 v81, s7, v81
	v_add_co_ci_u32_e32 v46, vcc_lo, s13, v50, vcc_lo
	v_add_co_u32 v43, vcc_lo, s12, v43
	s_delay_alu instid0(VALU_DEP_3)
	v_lshlrev_b64 v[49:50], 2, v[81:82]
	v_dual_mul_f32 v18, 0.5, v18 :: v_dual_add_nc_u32 v81, s7, v81
	v_add_co_ci_u32_e32 v44, vcc_lo, s13, v44, vcc_lo
	v_add_co_u32 v47, vcc_lo, s12, v47
	v_add_co_ci_u32_e32 v48, vcc_lo, s13, v48, vcc_lo
	s_clause 0x1
	global_store_b32 v[45:46], v57, off
	global_store_b32 v[43:44], v58, off
	v_lshlrev_b64 v[43:44], 2, v[81:82]
	v_add_nc_u32_e32 v81, s7, v81
	global_store_b32 v[47:48], v59, off
	v_add_co_u32 v45, vcc_lo, s12, v49
	v_add_co_ci_u32_e32 v46, vcc_lo, s13, v50, vcc_lo
	v_lshlrev_b64 v[47:48], 2, v[81:82]
	v_add_nc_u32_e32 v81, s7, v81
	v_add_co_u32 v43, vcc_lo, s12, v43
	v_add_co_ci_u32_e32 v44, vcc_lo, s13, v44, vcc_lo
	s_delay_alu instid0(VALU_DEP_3)
	v_lshlrev_b64 v[49:50], 2, v[81:82]
	v_add_nc_u32_e32 v81, s7, v81
	v_add_co_u32 v47, vcc_lo, s12, v47
	v_add_co_ci_u32_e32 v48, vcc_lo, s13, v48, vcc_lo
	s_clause 0x1
	global_store_b32 v[45:46], v60, off
	global_store_b32 v[43:44], v61, off
	v_lshlrev_b64 v[43:44], 2, v[81:82]
	v_add_nc_u32_e32 v81, s7, v81
	global_store_b32 v[47:48], v62, off
	v_add_co_u32 v45, vcc_lo, s12, v49
	v_add_co_ci_u32_e32 v46, vcc_lo, s13, v50, vcc_lo
	v_lshlrev_b64 v[47:48], 2, v[81:82]
	v_add_nc_u32_e32 v81, s7, v81
	v_add_co_u32 v43, vcc_lo, s12, v43
	v_add_co_ci_u32_e32 v44, vcc_lo, s13, v44, vcc_lo
	s_delay_alu instid0(VALU_DEP_3)
	v_lshlrev_b64 v[49:50], 2, v[81:82]
	v_add_nc_u32_e32 v81, s7, v81
	;; [unrolled: 17-line block ×4, first 2 shown]
	v_add_co_u32 v47, vcc_lo, s12, v47
	v_add_co_ci_u32_e32 v48, vcc_lo, s13, v48, vcc_lo
	s_clause 0x1
	global_store_b32 v[45:46], v69, off
	global_store_b32 v[43:44], v70, off
	v_lshlrev_b64 v[43:44], 2, v[81:82]
	v_add_nc_u32_e32 v81, s7, v81
	global_store_b32 v[47:48], v71, off
	v_add_co_u32 v45, vcc_lo, s12, v49
	v_add_co_ci_u32_e32 v46, vcc_lo, s13, v50, vcc_lo
	v_lshlrev_b64 v[47:48], 2, v[81:82]
	v_add_nc_u32_e32 v81, s7, v81
	v_add_co_u32 v43, vcc_lo, s12, v43
	v_add_co_ci_u32_e32 v44, vcc_lo, s13, v44, vcc_lo
	s_delay_alu instid0(VALU_DEP_3) | instskip(SKIP_3) | instid1(VALU_DEP_3)
	v_lshlrev_b64 v[49:50], 2, v[81:82]
	v_add_nc_u32_e32 v81, s7, v81
	v_add_co_u32 v47, vcc_lo, s12, v47
	v_add_co_ci_u32_e32 v48, vcc_lo, s13, v48, vcc_lo
	v_lshlrev_b64 v[51:52], 2, v[81:82]
	v_add_nc_u32_e32 v81, s7, v81
	v_add_co_u32 v49, vcc_lo, s12, v49
	v_add_co_ci_u32_e32 v50, vcc_lo, s13, v50, vcc_lo
	s_delay_alu instid0(VALU_DEP_3) | instskip(SKIP_3) | instid1(VALU_DEP_3)
	v_lshlrev_b64 v[53:54], 2, v[81:82]
	v_add_nc_u32_e32 v81, s7, v81
	;; [unrolled: 9-line block ×8, first 2 shown]
	v_add_co_u32 v75, vcc_lo, s12, v75
	v_add_co_ci_u32_e32 v76, vcc_lo, s13, v76, vcc_lo
	v_lshlrev_b64 v[79:80], 2, v[81:82]
	v_add_nc_u32_e32 v81, s7, v81
	v_add_co_u32 v77, vcc_lo, s12, v77
	v_mul_f32_e32 v15, 0.5, v15
	s_clause 0x10
	global_store_b32 v[45:46], v0, off
	global_store_b32 v[43:44], v1, off
	;; [unrolled: 1-line block ×17, first 2 shown]
	s_waitcnt vmcnt(0)
	v_mul_f32_e32 v14, 0.5, v42
	v_lshlrev_b64 v[0:1], 2, v[81:82]
	v_add_nc_u32_e32 v81, s7, v81
	v_add_co_ci_u32_e32 v78, vcc_lo, s13, v78, vcc_lo
	v_add_co_u32 v2, vcc_lo, s12, v79
	v_add_co_ci_u32_e32 v3, vcc_lo, s13, v80, vcc_lo
	v_mul_f32_e32 v17, 0.5, v17
	v_add_co_u32 v0, vcc_lo, s12, v0
	v_lshlrev_b64 v[4:5], 2, v[81:82]
	v_dual_mul_f32 v6, 0.5, v19 :: v_dual_add_nc_u32 v81, s7, v81
	v_add_co_ci_u32_e32 v1, vcc_lo, s13, v1, vcc_lo
	s_clause 0x2
	global_store_b32 v[77:78], v17, off
	global_store_b32 v[2:3], v18, off
	global_store_b32 v[0:1], v6, off
	v_lshlrev_b64 v[0:1], 2, v[81:82]
	v_add_nc_u32_e32 v81, s7, v81
	v_add_co_u32 v2, vcc_lo, s12, v4
	v_add_co_ci_u32_e32 v3, vcc_lo, s13, v5, vcc_lo
	s_delay_alu instid0(VALU_DEP_3)
	v_lshlrev_b64 v[4:5], 2, v[81:82]
	v_add_nc_u32_e32 v81, s7, v81
	v_add_co_u32 v0, vcc_lo, s12, v0
	v_add_co_ci_u32_e32 v1, vcc_lo, s13, v1, vcc_lo
	v_mul_f32_e32 v8, 0.5, v20
	v_add_co_u32 v4, vcc_lo, s12, v4
	v_lshlrev_b64 v[6:7], 2, v[81:82]
	v_add_nc_u32_e32 v81, s7, v81
	v_dual_mul_f32 v9, 0.5, v21 :: v_dual_mul_f32 v10, 0.5, v22
	v_add_co_ci_u32_e32 v5, vcc_lo, s13, v5, vcc_lo
	s_clause 0x2
	global_store_b32 v[2:3], v8, off
	global_store_b32 v[0:1], v9, off
	global_store_b32 v[4:5], v10, off
	v_lshlrev_b64 v[0:1], 2, v[81:82]
	v_add_nc_u32_e32 v81, s7, v81
	v_add_co_u32 v2, vcc_lo, s12, v6
	v_add_co_ci_u32_e32 v3, vcc_lo, s13, v7, vcc_lo
	s_delay_alu instid0(VALU_DEP_3)
	v_lshlrev_b64 v[4:5], 2, v[81:82]
	v_add_nc_u32_e32 v81, s7, v81
	v_add_co_u32 v0, vcc_lo, s12, v0
	v_add_co_ci_u32_e32 v1, vcc_lo, s13, v1, vcc_lo
	v_mul_f32_e32 v8, 0.5, v23
	v_add_co_u32 v4, vcc_lo, s12, v4
	v_lshlrev_b64 v[6:7], 2, v[81:82]
	v_add_nc_u32_e32 v81, s7, v81
	v_dual_mul_f32 v9, 0.5, v24 :: v_dual_mul_f32 v10, 0.5, v25
	;; [unrolled: 19-line block ×6, first 2 shown]
	v_add_co_ci_u32_e32 v5, vcc_lo, s13, v5, vcc_lo
	s_clause 0x2
	global_store_b32 v[2:3], v8, off
	global_store_b32 v[0:1], v9, off
	;; [unrolled: 1-line block ×3, first 2 shown]
	v_lshlrev_b64 v[0:1], 2, v[81:82]
	v_add_nc_u32_e32 v81, s7, v81
	v_add_co_u32 v2, vcc_lo, s12, v6
	v_add_co_ci_u32_e32 v3, vcc_lo, s13, v7, vcc_lo
	s_delay_alu instid0(VALU_DEP_3) | instskip(SKIP_3) | instid1(VALU_DEP_3)
	v_lshlrev_b64 v[4:5], 2, v[81:82]
	v_add_nc_u32_e32 v81, s7, v81
	v_add_co_u32 v0, vcc_lo, s12, v0
	v_add_co_ci_u32_e32 v1, vcc_lo, s13, v1, vcc_lo
	v_lshlrev_b64 v[6:7], 2, v[81:82]
	v_add_nc_u32_e32 v81, s7, v81
	v_add_co_u32 v4, vcc_lo, s12, v4
	v_add_co_ci_u32_e32 v5, vcc_lo, s13, v5, vcc_lo
	s_delay_alu instid0(VALU_DEP_3)
	v_lshlrev_b64 v[8:9], 2, v[81:82]
	v_add_co_u32 v6, vcc_lo, s12, v6
	v_dual_mul_f32 v10, 0.5, v38 :: v_dual_mul_f32 v11, 0.5, v39
	v_add_co_ci_u32_e32 v7, vcc_lo, s13, v7, vcc_lo
	v_mul_f32_e32 v12, 0.5, v40
	v_add_co_u32 v8, vcc_lo, s12, v8
	v_mul_f32_e32 v13, 0.5, v41
	v_add_co_ci_u32_e32 v9, vcc_lo, s13, v9, vcc_lo
	s_clause 0x4
	global_store_b32 v[2:3], v10, off
	global_store_b32 v[0:1], v11, off
	;; [unrolled: 1-line block ×5, first 2 shown]
.LBB6_32:
	s_endpgm
	.section	.rodata,"a",@progbits
	.p2align	6, 0x0
	.amdhsa_kernel _ZL11fasten_mainILm64EEviiPK4AtomS2_PKfS4_S4_S4_S4_S4_PfPK8FFParamsi
		.amdhsa_group_segment_fixed_size 0
		.amdhsa_private_segment_fixed_size 4896
		.amdhsa_kernarg_size 352
		.amdhsa_user_sgpr_count 15
		.amdhsa_user_sgpr_dispatch_ptr 0
		.amdhsa_user_sgpr_queue_ptr 0
		.amdhsa_user_sgpr_kernarg_segment_ptr 1
		.amdhsa_user_sgpr_dispatch_id 0
		.amdhsa_user_sgpr_private_segment_size 0
		.amdhsa_wavefront_size32 1
		.amdhsa_uses_dynamic_stack 0
		.amdhsa_enable_private_segment 1
		.amdhsa_system_sgpr_workgroup_id_x 1
		.amdhsa_system_sgpr_workgroup_id_y 0
		.amdhsa_system_sgpr_workgroup_id_z 0
		.amdhsa_system_sgpr_workgroup_info 0
		.amdhsa_system_vgpr_workitem_id 0
		.amdhsa_next_free_vgpr 192
		.amdhsa_next_free_sgpr 30
		.amdhsa_reserve_vcc 1
		.amdhsa_float_round_mode_32 0
		.amdhsa_float_round_mode_16_64 0
		.amdhsa_float_denorm_mode_32 3
		.amdhsa_float_denorm_mode_16_64 3
		.amdhsa_dx10_clamp 1
		.amdhsa_ieee_mode 1
		.amdhsa_fp16_overflow 0
		.amdhsa_workgroup_processor_mode 1
		.amdhsa_memory_ordered 1
		.amdhsa_forward_progress 0
		.amdhsa_shared_vgpr_count 0
		.amdhsa_exception_fp_ieee_invalid_op 0
		.amdhsa_exception_fp_denorm_src 0
		.amdhsa_exception_fp_ieee_div_zero 0
		.amdhsa_exception_fp_ieee_overflow 0
		.amdhsa_exception_fp_ieee_underflow 0
		.amdhsa_exception_fp_ieee_inexact 0
		.amdhsa_exception_int_div_zero 0
	.end_amdhsa_kernel
	.section	.text._ZL11fasten_mainILm64EEviiPK4AtomS2_PKfS4_S4_S4_S4_S4_PfPK8FFParamsi,"axG",@progbits,_ZL11fasten_mainILm64EEviiPK4AtomS2_PKfS4_S4_S4_S4_S4_PfPK8FFParamsi,comdat
.Lfunc_end6:
	.size	_ZL11fasten_mainILm64EEviiPK4AtomS2_PKfS4_S4_S4_S4_S4_PfPK8FFParamsi, .Lfunc_end6-_ZL11fasten_mainILm64EEviiPK4AtomS2_PKfS4_S4_S4_S4_S4_PfPK8FFParamsi
                                        ; -- End function
	.section	.AMDGPU.csdata,"",@progbits
; Kernel info:
; codeLenInByte = 39852
; NumSgprs: 32
; NumVgprs: 192
; ScratchSize: 4896
; MemoryBound: 0
; FloatMode: 240
; IeeeMode: 1
; LDSByteSize: 0 bytes/workgroup (compile time only)
; SGPRBlocks: 3
; VGPRBlocks: 23
; NumSGPRsForWavesPerEU: 32
; NumVGPRsForWavesPerEU: 192
; Occupancy: 8
; WaveLimiterHint : 1
; COMPUTE_PGM_RSRC2:SCRATCH_EN: 1
; COMPUTE_PGM_RSRC2:USER_SGPR: 15
; COMPUTE_PGM_RSRC2:TRAP_HANDLER: 0
; COMPUTE_PGM_RSRC2:TGID_X_EN: 1
; COMPUTE_PGM_RSRC2:TGID_Y_EN: 0
; COMPUTE_PGM_RSRC2:TGID_Z_EN: 0
; COMPUTE_PGM_RSRC2:TIDIG_COMP_CNT: 0
	.section	.text._ZL11fasten_mainILm128EEviiPK4AtomS2_PKfS4_S4_S4_S4_S4_PfPK8FFParamsi,"axG",@progbits,_ZL11fasten_mainILm128EEviiPK4AtomS2_PKfS4_S4_S4_S4_S4_PfPK8FFParamsi,comdat
	.globl	_ZL11fasten_mainILm128EEviiPK4AtomS2_PKfS4_S4_S4_S4_S4_PfPK8FFParamsi ; -- Begin function _ZL11fasten_mainILm128EEviiPK4AtomS2_PKfS4_S4_S4_S4_S4_PfPK8FFParamsi
	.p2align	8
	.type	_ZL11fasten_mainILm128EEviiPK4AtomS2_PKfS4_S4_S4_S4_S4_PfPK8FFParamsi,@function
_ZL11fasten_mainILm128EEviiPK4AtomS2_PKfS4_S4_S4_S4_S4_PfPK8FFParamsi: ; @_ZL11fasten_mainILm128EEviiPK4AtomS2_PKfS4_S4_S4_S4_S4_PfPK8FFParamsi
; %bb.0:
	s_clause 0x1
	s_load_b32 s2, s[0:1], 0x6c
	s_load_b32 s3, s[0:1], 0x58
	v_dual_mov_b32 v4, 16 :: v_dual_mov_b32 v3, 0
	s_mov_b32 s6, 0
	s_mov_b32 s8, 0x7fffff
	;; [unrolled: 1-line block ×4, first 2 shown]
	s_waitcnt lgkmcnt(0)
	s_and_b32 s28, s2, 0xffff
	s_add_i32 s4, s3, 0xffffff80
	s_mul_i32 s15, s15, s28
	s_lshl_b32 s7, s28, 2
	v_lshl_add_u32 v46, s15, 7, v0
	s_load_b512 s[12:27], s[0:1], 0x8
	s_delay_alu instid0(VALU_DEP_1) | instskip(NEXT) | instid1(VALU_DEP_1)
	v_cmp_gt_i32_e64 s2, s3, v46
	v_cndmask_b32_e64 v0, s4, v46, s2
	s_delay_alu instid0(VALU_DEP_1) | instskip(NEXT) | instid1(VALU_DEP_1)
	v_ashrrev_i32_e32 v1, 31, v0
	v_lshlrev_b64 v[0:1], 2, v[0:1]
	s_branch .LBB7_2
.LBB7_1:                                ;   in Loop: Header=BB7_2 Depth=1
	s_or_b32 exec_lo, exec_lo, s3
	v_add_co_u32 v21, vcc_lo, s22, v0
	v_add_co_ci_u32_e32 v22, vcc_lo, s23, v1, vcc_lo
	v_add_co_u32 v24, vcc_lo, s24, v0
	v_add_co_ci_u32_e32 v25, vcc_lo, s25, v1, vcc_lo
	;; [unrolled: 2-line block ×3, first 2 shown]
	global_load_b32 v21, v[21:22], off
	global_load_b32 v25, v[24:25], off
	;; [unrolled: 1-line block ×3, first 2 shown]
	v_dual_mul_f32 v22, v19, v19 :: v_dual_and_b32 v27, 1, v17
	v_dual_mul_f32 v31, v9, v9 :: v_dual_and_b32 v24, 1, v20
	v_dual_mul_f32 v33, v7, v7 :: v_dual_lshlrev_b32 v20, 30, v20
	v_dual_mul_f32 v26, v15, v15 :: v_dual_lshlrev_b32 v17, 30, v17
	v_dual_mul_f32 v35, v2, v2 :: v_dual_and_b32 v32, 1, v11
	s_delay_alu instid0(VALU_DEP_3) | instskip(SKIP_2) | instid1(VALU_DEP_4)
	v_dual_fmaak_f32 v47, s9, v33, 0x3c0881c4 :: v_dual_and_b32 v36, 1, v23
	v_dual_fmaak_f32 v38, s9, v22, 0x3c0881c4 :: v_dual_lshlrev_b32 v23, 30, v23
	v_dual_mul_f32 v28, v13, v13 :: v_dual_lshlrev_b32 v11, 30, v11
	v_dual_fmaak_f32 v40, s9, v26, 0x3c0881c4 :: v_dual_fmaak_f32 v49, s9, v35, 0x3c0881c4
	s_delay_alu instid0(VALU_DEP_3) | instskip(SKIP_1) | instid1(VALU_DEP_3)
	v_dual_fmaak_f32 v38, v22, v38, 0xbe2aaa9d :: v_dual_fmaak_f32 v47, v33, v47, 0xbe2aaa9d
	v_and_b32_e32 v17, 0x80000000, v17
	v_dual_fmaak_f32 v40, v26, v40, 0xbe2aaa9d :: v_dual_fmaak_f32 v49, v35, v49, 0xbe2aaa9d
	v_fmaak_f32 v42, s9, v28, 0x3c0881c4
	s_delay_alu instid0(VALU_DEP_4)
	v_mul_f32_e32 v38, v22, v38
	v_fmaak_f32 v44, s9, v31, 0x3c0881c4
	v_cmp_eq_u32_e32 vcc_lo, 0, v24
	v_dual_mul_f32 v49, v35, v49 :: v_dual_and_b32 v30, 1, v14
	v_fmaak_f32 v43, s10, v28, 0xbab64f3b
	v_fmac_f32_e32 v19, v19, v38
	v_fmaak_f32 v42, v28, v42, 0xbe2aaa9d
	v_and_b32_e32 v23, 0x80000000, v23
	v_dual_fmaak_f32 v39, s10, v22, 0xbab64f3b :: v_dual_and_b32 v34, 1, v8
	v_dual_fmaak_f32 v41, s10, v26, 0xbab64f3b :: v_dual_lshlrev_b32 v8, 30, v8
	s_delay_alu instid0(VALU_DEP_4) | instskip(SKIP_3) | instid1(VALU_DEP_4)
	v_mul_f32_e32 v42, v28, v42
	v_fmaak_f32 v48, s10, v33, 0xbab64f3b
	v_dual_fmaak_f32 v45, s10, v31, 0xbab64f3b :: v_dual_lshlrev_b32 v14, 30, v14
	v_dual_mul_f32 v40, v26, v40 :: v_dual_and_b32 v11, 0x80000000, v11
	v_dual_fmac_f32 v13, v13, v42 :: v_dual_fmaak_f32 v44, v31, v44, 0xbe2aaa9d
	s_delay_alu instid0(VALU_DEP_4) | instskip(SKIP_1) | instid1(VALU_DEP_4)
	v_dual_fmaak_f32 v39, v22, v39, 0x3d2aabf7 :: v_dual_fmaak_f32 v48, v33, v48, 0x3d2aabf7
	v_fmaak_f32 v43, v28, v43, 0x3d2aabf7
	v_dual_fmac_f32 v15, v15, v40 :: v_dual_and_b32 v14, 0x80000000, v14
	s_delay_alu instid0(VALU_DEP_4) | instskip(SKIP_3) | instid1(VALU_DEP_4)
	v_mul_f32_e32 v44, v31, v44
	v_fmaak_f32 v50, s10, v35, 0xbab64f3b
	v_dual_fmaak_f32 v39, v22, v39, 0xbf000004 :: v_dual_fmaak_f32 v48, v33, v48, 0xbf000004
	v_fmaak_f32 v45, v31, v45, 0x3d2aabf7
	v_fmac_f32_e32 v9, v9, v44
	s_delay_alu instid0(VALU_DEP_4) | instskip(NEXT) | instid1(VALU_DEP_4)
	v_dual_fmaak_f32 v41, v26, v41, 0x3d2aabf7 :: v_dual_fmaak_f32 v50, v35, v50, 0x3d2aabf7
	v_fma_f32 v22, v22, v39, 1.0
	v_dual_fmaak_f32 v43, v28, v43, 0xbf000004 :: v_dual_fmac_f32 v2, v2, v49
	s_delay_alu instid0(VALU_DEP_3) | instskip(NEXT) | instid1(VALU_DEP_3)
	v_dual_fmaak_f32 v41, v26, v41, 0xbf000004 :: v_dual_fmaak_f32 v50, v35, v50, 0xbf000004
	v_cndmask_b32_e32 v19, v22, v19, vcc_lo
	v_cmp_eq_u32_e32 vcc_lo, 0, v27
	v_fmaak_f32 v45, v31, v45, 0xbf000004
	s_delay_alu instid0(VALU_DEP_4) | instskip(SKIP_2) | instid1(VALU_DEP_4)
	v_fma_f32 v26, v26, v41, 1.0
	v_fma_f32 v28, v28, v43, 1.0
	v_dual_mul_f32 v47, v33, v47 :: v_dual_and_b32 v20, 0x80000000, v20
	v_fma_f32 v31, v31, v45, 1.0
	s_delay_alu instid0(VALU_DEP_4) | instskip(SKIP_1) | instid1(VALU_DEP_4)
	v_cndmask_b32_e64 v15, -v15, v26, vcc_lo
	v_cmp_eq_u32_e32 vcc_lo, 0, v30
	v_dual_fmac_f32 v7, v7, v47 :: v_dual_and_b32 v8, 0x80000000, v8
	v_fma_f32 v33, v33, v48, 1.0
	v_xor_b32_e32 v12, v12, v10
	v_cndmask_b32_e32 v13, v28, v13, vcc_lo
	v_cmp_eq_u32_e32 vcc_lo, 0, v32
	v_add_nc_u32_e64 v37, 0x210, s6
	v_fma_f32 v35, v35, v50, 1.0
	v_xor_b32_e32 v18, v18, v16
	v_xor_b32_e32 v6, v6, v5
	v_cndmask_b32_e64 v9, -v9, v31, vcc_lo
	v_cmp_eq_u32_e32 vcc_lo, 0, v34
	v_cmp_class_f32_e64 s3, v5, 0x1f8
	v_xor3_b32 v18, v18, v20, v19
	v_cmp_class_f32_e64 s4, v16, 0x1f8
	v_xor_b32_e32 v9, v11, v9
	v_cndmask_b32_e32 v7, v33, v7, vcc_lo
	v_cmp_eq_u32_e32 vcc_lo, 0, v36
	v_xor_b32_e32 v15, v17, v15
	v_add_nc_u32_e32 v11, 32, v37
	v_cndmask_b32_e64 v9, 0x7fc00000, v9, s3
	v_xor3_b32 v5, v6, v8, v7
	v_cndmask_b32_e64 v2, -v2, v35, vcc_lo
	v_cmp_class_f32_e64 vcc_lo, v10, 0x1f8
	v_xor3_b32 v10, v12, v14, v13
	v_cndmask_b32_e64 v6, 0x7fc00000, v18, s4
	v_cndmask_b32_e64 v5, 0x7fc00000, v5, s3
	v_xor_b32_e32 v2, v23, v2
	scratch_store_b32 v4, v3, off
	v_cndmask_b32_e32 v8, 0x7fc00000, v10, vcc_lo
	v_mul_f32_e32 v14, v9, v6
	v_add_nc_u32_e32 v4, 4, v4
	v_cndmask_b32_e64 v2, 0x7fc00000, v2, s4
	s_add_i32 s5, s6, 0x210
	v_mul_f32_e32 v13, v9, v8
	v_dual_cndmask_b32 v7, 0x7fc00000, v15 :: v_dual_mul_f32 v12, v5, v8
	s_delay_alu instid0(VALU_DEP_3) | instskip(SKIP_1) | instid1(VALU_DEP_4)
	v_mul_f32_e32 v23, v9, v2
	v_mul_f32_e32 v15, v5, v2
	;; [unrolled: 1-line block ×3, first 2 shown]
	v_add_co_u32 v0, vcc_lo, v0, s7
	v_add_co_ci_u32_e32 v1, vcc_lo, 0, v1, vcc_lo
	v_dual_mul_f32 v18, v7, v2 :: v_dual_mul_f32 v27, v5, v7
	v_fma_f32 v19, v12, v2, -v14
	v_fmac_f32_e32 v20, v5, v6
	s_add_i32 s6, s6, 48
	v_add_nc_u32_e32 v10, 16, v37
	v_mul_f32_e32 v22, v7, v6
	v_dual_fmac_f32 v23, v12, v6 :: v_dual_mul_f32 v28, v9, v7
	v_fma_f32 v24, v13, v6, -v15
	v_xor_b32_e32 v26, 0x80000000, v8
	s_cmpk_lg_i32 s6, 0x1800
	s_waitcnt vmcnt(2)
	scratch_store_b128 off, v[18:21], s5
	s_waitcnt vmcnt(1)
	scratch_store_b128 v10, v[22:25], off
	s_waitcnt vmcnt(0)
	scratch_store_b128 v11, v[26:29], off
	s_cbranch_scc0 .LBB7_26
.LBB7_2:                                ; =>This Inner Loop Header: Depth=1
	s_waitcnt lgkmcnt(0)
	s_delay_alu instid0(VALU_DEP_1) | instskip(NEXT) | instid1(VALU_DEP_2)
	v_add_co_u32 v5, vcc_lo, s16, v0
	v_add_co_ci_u32_e32 v6, vcc_lo, s17, v1, vcc_lo
                                        ; implicit-def: $vgpr8
                                        ; implicit-def: $vgpr7
	global_load_b32 v5, v[5:6], off
	s_waitcnt vmcnt(0)
	v_and_b32_e32 v6, 0x7fffffff, v5
	v_cmp_ngt_f32_e64 s11, 0x48000000, |v5|
	s_delay_alu instid0(VALU_DEP_2) | instskip(SKIP_1) | instid1(VALU_DEP_2)
	v_lshrrev_b32_e32 v2, 23, v6
	v_and_or_b32 v10, v6, s8, 0x800000
	v_add_nc_u32_e32 v12, 0xffffff88, v2
	s_delay_alu instid0(VALU_DEP_4) | instskip(NEXT) | instid1(SALU_CYCLE_1)
	s_and_saveexec_b32 s3, s11
	s_xor_b32 s29, exec_lo, s3
	s_cbranch_execz .LBB7_4
; %bb.3:                                ;   in Loop: Header=BB7_2 Depth=1
	v_mad_u64_u32 v[7:8], null, 0xfe5163ab, v10, 0
	v_cmp_lt_u32_e32 vcc_lo, 63, v12
	s_delay_alu instid0(VALU_DEP_2) | instskip(NEXT) | instid1(VALU_DEP_1)
	v_mov_b32_e32 v2, v8
	v_mad_u64_u32 v[8:9], null, 0x3c439041, v10, v[2:3]
	s_delay_alu instid0(VALU_DEP_1) | instskip(SKIP_1) | instid1(VALU_DEP_1)
	v_mov_b32_e32 v2, v9
	v_cndmask_b32_e64 v9, 0, 0xffffffc0, vcc_lo
	v_add_nc_u32_e32 v9, v9, v12
	s_delay_alu instid0(VALU_DEP_1) | instskip(NEXT) | instid1(VALU_DEP_1)
	v_cmp_lt_u32_e64 s3, 31, v9
	v_cndmask_b32_e64 v11, 0, 0xffffffe0, s3
	s_delay_alu instid0(VALU_DEP_1) | instskip(SKIP_1) | instid1(VALU_DEP_2)
	v_add_nc_u32_e32 v9, v11, v9
	v_mad_u64_u32 v[13:14], null, 0xdb629599, v10, v[2:3]
	v_cmp_lt_u32_e64 s4, 31, v9
	s_delay_alu instid0(VALU_DEP_2) | instskip(NEXT) | instid1(VALU_DEP_1)
	v_dual_mov_b32 v2, v14 :: v_dual_cndmask_b32 v7, v13, v7
	v_mad_u64_u32 v[14:15], null, 0xf534ddc0, v10, v[2:3]
	s_delay_alu instid0(VALU_DEP_1) | instskip(NEXT) | instid1(VALU_DEP_2)
	v_mov_b32_e32 v2, v15
	v_cndmask_b32_e32 v8, v14, v8, vcc_lo
	s_delay_alu instid0(VALU_DEP_2) | instskip(NEXT) | instid1(VALU_DEP_2)
	v_mad_u64_u32 v[15:16], null, 0xfc2757d1, v10, v[2:3]
	v_cndmask_b32_e64 v7, v8, v7, s3
	s_delay_alu instid0(VALU_DEP_2) | instskip(NEXT) | instid1(VALU_DEP_1)
	v_mov_b32_e32 v2, v16
	v_mad_u64_u32 v[16:17], null, 0x4e441529, v10, v[2:3]
	s_delay_alu instid0(VALU_DEP_1) | instskip(NEXT) | instid1(VALU_DEP_1)
	v_dual_mov_b32 v2, v17 :: v_dual_cndmask_b32 v11, v16, v14
	v_mad_u64_u32 v[17:18], null, 0xa2f9836e, v10, v[2:3]
	v_cndmask_b32_e64 v2, 0, 0xffffffe0, s4
	s_delay_alu instid0(VALU_DEP_1) | instskip(NEXT) | instid1(VALU_DEP_3)
	v_dual_cndmask_b32 v17, v17, v15 :: v_dual_add_nc_u32 v2, v2, v9
	v_dual_cndmask_b32 v16, v18, v16 :: v_dual_cndmask_b32 v15, v15, v13
	s_delay_alu instid0(VALU_DEP_2) | instskip(NEXT) | instid1(VALU_DEP_3)
	v_cmp_eq_u32_e64 s5, 0, v2
	v_cndmask_b32_e64 v9, v17, v11, s3
	s_delay_alu instid0(VALU_DEP_3) | instskip(NEXT) | instid1(VALU_DEP_4)
	v_cndmask_b32_e64 v14, v16, v17, s3
	v_cndmask_b32_e64 v11, v11, v15, s3
	v_sub_nc_u32_e32 v16, 32, v2
	v_cndmask_b32_e64 v15, v15, v8, s3
	s_delay_alu instid0(VALU_DEP_4) | instskip(NEXT) | instid1(VALU_DEP_4)
	v_cndmask_b32_e64 v14, v14, v9, s4
	v_cndmask_b32_e64 v9, v9, v11, s4
	s_delay_alu instid0(VALU_DEP_3) | instskip(SKIP_1) | instid1(VALU_DEP_3)
	v_cndmask_b32_e64 v11, v11, v15, s4
	v_cndmask_b32_e64 v7, v15, v7, s4
	v_alignbit_b32 v17, v14, v9, v16
	s_delay_alu instid0(VALU_DEP_3) | instskip(NEXT) | instid1(VALU_DEP_3)
	v_alignbit_b32 v18, v9, v11, v16
	v_alignbit_b32 v16, v11, v7, v16
	s_delay_alu instid0(VALU_DEP_3) | instskip(NEXT) | instid1(VALU_DEP_3)
	v_cndmask_b32_e64 v2, v17, v14, s5
	v_cndmask_b32_e64 v9, v18, v9, s5
	s_delay_alu instid0(VALU_DEP_3) | instskip(NEXT) | instid1(VALU_DEP_3)
	v_cndmask_b32_e64 v11, v16, v11, s5
	v_bfe_u32 v13, v2, 29, 1
	s_delay_alu instid0(VALU_DEP_3) | instskip(NEXT) | instid1(VALU_DEP_3)
	v_alignbit_b32 v8, v2, v9, 30
	v_alignbit_b32 v9, v9, v11, 30
	;; [unrolled: 1-line block ×3, first 2 shown]
	s_delay_alu instid0(VALU_DEP_4) | instskip(NEXT) | instid1(VALU_DEP_1)
	v_sub_nc_u32_e32 v14, 0, v13
	v_xor_b32_e32 v15, v8, v14
	v_cmp_ne_u32_e32 vcc_lo, v8, v14
	v_xor_b32_e32 v9, v9, v14
	v_xor_b32_e32 v7, v7, v14
	s_delay_alu instid0(VALU_DEP_4) | instskip(NEXT) | instid1(VALU_DEP_1)
	v_clz_i32_u32_e32 v17, v15
	v_add_nc_u32_e32 v16, 1, v17
	s_delay_alu instid0(VALU_DEP_1) | instskip(NEXT) | instid1(VALU_DEP_1)
	v_cndmask_b32_e32 v8, 33, v16, vcc_lo
	v_sub_nc_u32_e32 v11, 32, v8
	s_delay_alu instid0(VALU_DEP_1) | instskip(SKIP_3) | instid1(VALU_DEP_3)
	v_alignbit_b32 v14, v15, v9, v11
	v_alignbit_b32 v7, v9, v7, v11
	v_lshrrev_b32_e32 v9, 29, v2
	v_lshrrev_b32_e32 v2, 30, v2
	v_alignbit_b32 v11, v14, v7, 9
	s_delay_alu instid0(VALU_DEP_3) | instskip(SKIP_1) | instid1(VALU_DEP_3)
	v_lshlrev_b32_e32 v9, 31, v9
	v_alignbit_b32 v14, v8, v14, 9
	v_clz_i32_u32_e32 v15, v11
	s_delay_alu instid0(VALU_DEP_2) | instskip(SKIP_1) | instid1(VALU_DEP_3)
	v_or_b32_e32 v14, v14, v9
	v_or_b32_e32 v9, 0x33800000, v9
	v_min_u32_e32 v15, 32, v15
	s_delay_alu instid0(VALU_DEP_3) | instskip(NEXT) | instid1(VALU_DEP_2)
	v_xor_b32_e32 v14, 1.0, v14
	v_sub_nc_u32_e32 v16, 31, v15
	v_add_lshl_u32 v8, v15, v8, 23
	s_delay_alu instid0(VALU_DEP_3) | instskip(NEXT) | instid1(VALU_DEP_3)
	v_mul_f32_e32 v15, 0x3fc90fda, v14
	v_alignbit_b32 v7, v11, v7, v16
	s_delay_alu instid0(VALU_DEP_3) | instskip(NEXT) | instid1(VALU_DEP_3)
	v_sub_nc_u32_e32 v8, v9, v8
	v_fma_f32 v9, 0x3fc90fda, v14, -v15
	s_delay_alu instid0(VALU_DEP_3) | instskip(NEXT) | instid1(VALU_DEP_2)
	v_lshrrev_b32_e32 v7, 9, v7
	v_fmac_f32_e32 v9, 0x33a22168, v14
	s_delay_alu instid0(VALU_DEP_2) | instskip(NEXT) | instid1(VALU_DEP_1)
	v_or_b32_e32 v7, v8, v7
	v_dual_fmac_f32 v9, 0x3fc90fda, v7 :: v_dual_add_nc_u32 v8, v13, v2
	s_delay_alu instid0(VALU_DEP_1)
	v_add_f32_e32 v7, v15, v9
.LBB7_4:                                ;   in Loop: Header=BB7_2 Depth=1
	s_or_saveexec_b32 s3, s29
	v_mul_f32_e64 v2, 0x3f22f983, |v5|
	s_delay_alu instid0(VALU_DEP_1)
	v_rndne_f32_e32 v2, v2
	s_xor_b32 exec_lo, exec_lo, s3
; %bb.5:                                ;   in Loop: Header=BB7_2 Depth=1
	s_delay_alu instid0(VALU_DEP_1) | instskip(SKIP_1) | instid1(VALU_DEP_2)
	v_fma_f32 v7, 0xbfc90fda, v2, |v5|
	v_cvt_i32_f32_e32 v8, v2
	v_fmac_f32_e32 v7, 0xb3a22168, v2
	s_delay_alu instid0(VALU_DEP_1)
	v_fmac_f32_e32 v7, 0xa7c234c4, v2
; %bb.6:                                ;   in Loop: Header=BB7_2 Depth=1
	s_or_b32 exec_lo, exec_lo, s3
                                        ; implicit-def: $vgpr11
                                        ; implicit-def: $vgpr9
	s_and_saveexec_b32 s3, s11
	s_delay_alu instid0(SALU_CYCLE_1)
	s_xor_b32 s11, exec_lo, s3
	s_cbranch_execz .LBB7_8
; %bb.7:                                ;   in Loop: Header=BB7_2 Depth=1
	v_mad_u64_u32 v[13:14], null, 0xfe5163ab, v10, 0
	v_cmp_lt_u32_e32 vcc_lo, 63, v12
	v_cndmask_b32_e64 v9, 0, 0xffffffc0, vcc_lo
	s_delay_alu instid0(VALU_DEP_1) | instskip(NEXT) | instid1(VALU_DEP_1)
	v_dual_mov_b32 v2, v14 :: v_dual_add_nc_u32 v9, v9, v12
	v_mad_u64_u32 v[14:15], null, 0x3c439041, v10, v[2:3]
	s_delay_alu instid0(VALU_DEP_2) | instskip(NEXT) | instid1(VALU_DEP_2)
	v_cmp_lt_u32_e64 s3, 31, v9
	v_mov_b32_e32 v2, v15
	s_delay_alu instid0(VALU_DEP_1) | instskip(NEXT) | instid1(VALU_DEP_1)
	v_mad_u64_u32 v[15:16], null, 0xdb629599, v10, v[2:3]
	v_mov_b32_e32 v2, v16
	s_delay_alu instid0(VALU_DEP_1) | instskip(NEXT) | instid1(VALU_DEP_1)
	v_mad_u64_u32 v[16:17], null, 0xf534ddc0, v10, v[2:3]
	;; [unrolled: 3-line block ×3, first 2 shown]
	v_mov_b32_e32 v2, v18
	v_cndmask_b32_e64 v18, 0, 0xffffffe0, s3
	s_delay_alu instid0(VALU_DEP_2) | instskip(NEXT) | instid1(VALU_DEP_2)
	v_mad_u64_u32 v[11:12], null, 0x4e441529, v10, v[2:3]
	v_add_nc_u32_e32 v9, v18, v9
	s_delay_alu instid0(VALU_DEP_1) | instskip(NEXT) | instid1(VALU_DEP_3)
	v_cmp_lt_u32_e64 s4, 31, v9
	v_mov_b32_e32 v2, v12
	s_delay_alu instid0(VALU_DEP_1) | instskip(NEXT) | instid1(VALU_DEP_3)
	v_mad_u64_u32 v[18:19], null, 0xa2f9836e, v10, v[2:3]
	v_cndmask_b32_e64 v2, 0, 0xffffffe0, s4
	v_cndmask_b32_e32 v10, v11, v16, vcc_lo
	s_delay_alu instid0(VALU_DEP_2) | instskip(NEXT) | instid1(VALU_DEP_4)
	v_add_nc_u32_e32 v2, v2, v9
	v_dual_cndmask_b32 v12, v18, v17 :: v_dual_cndmask_b32 v11, v19, v11
	v_cndmask_b32_e32 v17, v17, v15, vcc_lo
	v_cndmask_b32_e32 v9, v16, v14, vcc_lo
	s_delay_alu instid0(VALU_DEP_4) | instskip(NEXT) | instid1(VALU_DEP_4)
	v_cmp_eq_u32_e64 s5, 0, v2
	v_cndmask_b32_e64 v14, v12, v10, s3
	v_cndmask_b32_e64 v11, v11, v12, s3
	;; [unrolled: 1-line block ×3, first 2 shown]
	v_sub_nc_u32_e32 v12, 32, v2
	v_cndmask_b32_e64 v16, v17, v9, s3
	s_delay_alu instid0(VALU_DEP_4) | instskip(NEXT) | instid1(VALU_DEP_4)
	v_cndmask_b32_e64 v11, v11, v14, s4
	v_cndmask_b32_e64 v14, v14, v10, s4
	s_delay_alu instid0(VALU_DEP_3) | instskip(NEXT) | instid1(VALU_DEP_2)
	v_cndmask_b32_e64 v10, v10, v16, s4
	v_alignbit_b32 v17, v11, v14, v12
	s_delay_alu instid0(VALU_DEP_2) | instskip(NEXT) | instid1(VALU_DEP_2)
	v_alignbit_b32 v18, v14, v10, v12
	v_cndmask_b32_e64 v2, v17, v11, s5
	v_cndmask_b32_e32 v11, v15, v13, vcc_lo
	s_delay_alu instid0(VALU_DEP_3) | instskip(NEXT) | instid1(VALU_DEP_3)
	v_cndmask_b32_e64 v13, v18, v14, s5
	v_bfe_u32 v14, v2, 29, 1
	s_delay_alu instid0(VALU_DEP_3) | instskip(NEXT) | instid1(VALU_DEP_3)
	v_cndmask_b32_e64 v9, v9, v11, s3
	v_alignbit_b32 v11, v2, v13, 30
	s_delay_alu instid0(VALU_DEP_3) | instskip(NEXT) | instid1(VALU_DEP_3)
	v_sub_nc_u32_e32 v15, 0, v14
	v_cndmask_b32_e64 v9, v16, v9, s4
	s_delay_alu instid0(VALU_DEP_2) | instskip(NEXT) | instid1(VALU_DEP_2)
	v_xor_b32_e32 v16, v11, v15
	v_alignbit_b32 v12, v10, v9, v12
	v_cmp_ne_u32_e32 vcc_lo, v11, v15
	s_delay_alu instid0(VALU_DEP_3) | instskip(NEXT) | instid1(VALU_DEP_3)
	v_clz_i32_u32_e32 v17, v16
	v_cndmask_b32_e64 v10, v12, v10, s5
	s_delay_alu instid0(VALU_DEP_2) | instskip(NEXT) | instid1(VALU_DEP_2)
	v_add_nc_u32_e32 v12, 1, v17
	v_alignbit_b32 v13, v13, v10, 30
	v_alignbit_b32 v9, v10, v9, 30
	s_delay_alu instid0(VALU_DEP_3) | instskip(NEXT) | instid1(VALU_DEP_3)
	v_cndmask_b32_e32 v11, 33, v12, vcc_lo
	v_xor_b32_e32 v10, v13, v15
	s_delay_alu instid0(VALU_DEP_3) | instskip(NEXT) | instid1(VALU_DEP_3)
	v_xor_b32_e32 v9, v9, v15
	v_sub_nc_u32_e32 v12, 32, v11
	s_delay_alu instid0(VALU_DEP_1) | instskip(NEXT) | instid1(VALU_DEP_3)
	v_alignbit_b32 v13, v16, v10, v12
	v_alignbit_b32 v9, v10, v9, v12
	v_lshrrev_b32_e32 v10, 29, v2
	v_lshrrev_b32_e32 v2, 30, v2
	s_delay_alu instid0(VALU_DEP_3) | instskip(NEXT) | instid1(VALU_DEP_3)
	v_alignbit_b32 v12, v13, v9, 9
	v_lshlrev_b32_e32 v10, 31, v10
	v_alignbit_b32 v13, v11, v13, 9
	s_delay_alu instid0(VALU_DEP_3) | instskip(NEXT) | instid1(VALU_DEP_2)
	v_clz_i32_u32_e32 v15, v12
	v_or_b32_e32 v13, v13, v10
	v_or_b32_e32 v10, 0x33800000, v10
	s_delay_alu instid0(VALU_DEP_3) | instskip(NEXT) | instid1(VALU_DEP_3)
	v_min_u32_e32 v15, 32, v15
	v_xor_b32_e32 v13, 1.0, v13
	s_delay_alu instid0(VALU_DEP_2) | instskip(SKIP_1) | instid1(VALU_DEP_3)
	v_sub_nc_u32_e32 v16, 31, v15
	v_add_lshl_u32 v11, v15, v11, 23
	v_mul_f32_e32 v15, 0x3fc90fda, v13
	s_delay_alu instid0(VALU_DEP_3) | instskip(NEXT) | instid1(VALU_DEP_3)
	v_alignbit_b32 v9, v12, v9, v16
	v_sub_nc_u32_e32 v10, v10, v11
	s_delay_alu instid0(VALU_DEP_3) | instskip(NEXT) | instid1(VALU_DEP_3)
	v_fma_f32 v11, 0x3fc90fda, v13, -v15
	v_lshrrev_b32_e32 v9, 9, v9
	s_delay_alu instid0(VALU_DEP_2) | instskip(NEXT) | instid1(VALU_DEP_2)
	v_fmac_f32_e32 v11, 0x33a22168, v13
	v_or_b32_e32 v9, v10, v9
	s_delay_alu instid0(VALU_DEP_1) | instskip(NEXT) | instid1(VALU_DEP_1)
	v_fmac_f32_e32 v11, 0x3fc90fda, v9
	v_add_f32_e32 v9, v15, v11
	v_add_nc_u32_e32 v11, v14, v2
                                        ; implicit-def: $vgpr2
	s_and_not1_saveexec_b32 s3, s11
	s_cbranch_execnz .LBB7_9
	s_branch .LBB7_10
.LBB7_8:                                ;   in Loop: Header=BB7_2 Depth=1
	s_and_not1_saveexec_b32 s3, s11
.LBB7_9:                                ;   in Loop: Header=BB7_2 Depth=1
	v_fma_f32 v9, 0xbfc90fda, v2, |v5|
	v_cvt_i32_f32_e32 v11, v2
	s_delay_alu instid0(VALU_DEP_2) | instskip(NEXT) | instid1(VALU_DEP_1)
	v_fmac_f32_e32 v9, 0xb3a22168, v2
	v_fmac_f32_e32 v9, 0xa7c234c4, v2
.LBB7_10:                               ;   in Loop: Header=BB7_2 Depth=1
	s_or_b32 exec_lo, exec_lo, s3
	v_add_co_u32 v12, vcc_lo, s18, v0
	v_add_co_ci_u32_e32 v13, vcc_lo, s19, v1, vcc_lo
                                        ; implicit-def: $vgpr14
	global_load_b32 v10, v[12:13], off
                                        ; implicit-def: $vgpr13
	s_waitcnt vmcnt(0)
	v_and_b32_e32 v12, 0x7fffffff, v10
	v_cmp_ngt_f32_e64 s11, 0x48000000, |v10|
	s_delay_alu instid0(VALU_DEP_2) | instskip(SKIP_1) | instid1(VALU_DEP_2)
	v_lshrrev_b32_e32 v2, 23, v12
	v_and_or_b32 v16, v12, s8, 0x800000
	v_add_nc_u32_e32 v18, 0xffffff88, v2
	s_delay_alu instid0(VALU_DEP_4) | instskip(NEXT) | instid1(SALU_CYCLE_1)
	s_and_saveexec_b32 s3, s11
	s_xor_b32 s29, exec_lo, s3
	s_cbranch_execz .LBB7_12
; %bb.11:                               ;   in Loop: Header=BB7_2 Depth=1
	v_mad_u64_u32 v[13:14], null, 0xfe5163ab, v16, 0
	v_cmp_lt_u32_e32 vcc_lo, 63, v18
	s_delay_alu instid0(VALU_DEP_2) | instskip(NEXT) | instid1(VALU_DEP_1)
	v_mov_b32_e32 v2, v14
	v_mad_u64_u32 v[14:15], null, 0x3c439041, v16, v[2:3]
	s_delay_alu instid0(VALU_DEP_1) | instskip(SKIP_1) | instid1(VALU_DEP_1)
	v_mov_b32_e32 v2, v15
	v_cndmask_b32_e64 v15, 0, 0xffffffc0, vcc_lo
	v_add_nc_u32_e32 v15, v15, v18
	s_delay_alu instid0(VALU_DEP_1) | instskip(NEXT) | instid1(VALU_DEP_1)
	v_cmp_lt_u32_e64 s3, 31, v15
	v_cndmask_b32_e64 v17, 0, 0xffffffe0, s3
	s_delay_alu instid0(VALU_DEP_1) | instskip(SKIP_1) | instid1(VALU_DEP_2)
	v_add_nc_u32_e32 v15, v17, v15
	v_mad_u64_u32 v[19:20], null, 0xdb629599, v16, v[2:3]
	v_cmp_lt_u32_e64 s4, 31, v15
	s_delay_alu instid0(VALU_DEP_2) | instskip(NEXT) | instid1(VALU_DEP_1)
	v_dual_mov_b32 v2, v20 :: v_dual_cndmask_b32 v13, v19, v13
	v_mad_u64_u32 v[20:21], null, 0xf534ddc0, v16, v[2:3]
	s_delay_alu instid0(VALU_DEP_1) | instskip(NEXT) | instid1(VALU_DEP_2)
	v_mov_b32_e32 v2, v21
	v_cndmask_b32_e32 v14, v20, v14, vcc_lo
	s_delay_alu instid0(VALU_DEP_2) | instskip(NEXT) | instid1(VALU_DEP_2)
	v_mad_u64_u32 v[21:22], null, 0xfc2757d1, v16, v[2:3]
	v_cndmask_b32_e64 v13, v14, v13, s3
	s_delay_alu instid0(VALU_DEP_2) | instskip(NEXT) | instid1(VALU_DEP_1)
	v_mov_b32_e32 v2, v22
	v_mad_u64_u32 v[22:23], null, 0x4e441529, v16, v[2:3]
	s_delay_alu instid0(VALU_DEP_1) | instskip(NEXT) | instid1(VALU_DEP_1)
	v_dual_mov_b32 v2, v23 :: v_dual_cndmask_b32 v17, v22, v20
	v_mad_u64_u32 v[23:24], null, 0xa2f9836e, v16, v[2:3]
	v_cndmask_b32_e64 v2, 0, 0xffffffe0, s4
	s_delay_alu instid0(VALU_DEP_1) | instskip(NEXT) | instid1(VALU_DEP_3)
	v_dual_cndmask_b32 v23, v23, v21 :: v_dual_add_nc_u32 v2, v2, v15
	v_dual_cndmask_b32 v22, v24, v22 :: v_dual_cndmask_b32 v21, v21, v19
	s_delay_alu instid0(VALU_DEP_2) | instskip(NEXT) | instid1(VALU_DEP_3)
	v_cmp_eq_u32_e64 s5, 0, v2
	v_cndmask_b32_e64 v15, v23, v17, s3
	s_delay_alu instid0(VALU_DEP_3) | instskip(NEXT) | instid1(VALU_DEP_4)
	v_cndmask_b32_e64 v20, v22, v23, s3
	v_cndmask_b32_e64 v17, v17, v21, s3
	v_sub_nc_u32_e32 v22, 32, v2
	v_cndmask_b32_e64 v21, v21, v14, s3
	s_delay_alu instid0(VALU_DEP_4) | instskip(NEXT) | instid1(VALU_DEP_4)
	v_cndmask_b32_e64 v20, v20, v15, s4
	v_cndmask_b32_e64 v15, v15, v17, s4
	s_delay_alu instid0(VALU_DEP_3) | instskip(SKIP_1) | instid1(VALU_DEP_3)
	v_cndmask_b32_e64 v17, v17, v21, s4
	v_cndmask_b32_e64 v13, v21, v13, s4
	v_alignbit_b32 v23, v20, v15, v22
	s_delay_alu instid0(VALU_DEP_3) | instskip(NEXT) | instid1(VALU_DEP_3)
	v_alignbit_b32 v24, v15, v17, v22
	v_alignbit_b32 v22, v17, v13, v22
	s_delay_alu instid0(VALU_DEP_3) | instskip(NEXT) | instid1(VALU_DEP_3)
	v_cndmask_b32_e64 v2, v23, v20, s5
	v_cndmask_b32_e64 v15, v24, v15, s5
	s_delay_alu instid0(VALU_DEP_3) | instskip(NEXT) | instid1(VALU_DEP_3)
	v_cndmask_b32_e64 v17, v22, v17, s5
	v_bfe_u32 v19, v2, 29, 1
	s_delay_alu instid0(VALU_DEP_3) | instskip(NEXT) | instid1(VALU_DEP_3)
	v_alignbit_b32 v14, v2, v15, 30
	v_alignbit_b32 v15, v15, v17, 30
	v_alignbit_b32 v13, v17, v13, 30
	s_delay_alu instid0(VALU_DEP_4) | instskip(NEXT) | instid1(VALU_DEP_1)
	v_sub_nc_u32_e32 v20, 0, v19
	v_xor_b32_e32 v21, v14, v20
	v_cmp_ne_u32_e32 vcc_lo, v14, v20
	v_xor_b32_e32 v15, v15, v20
	v_xor_b32_e32 v13, v13, v20
	s_delay_alu instid0(VALU_DEP_4) | instskip(NEXT) | instid1(VALU_DEP_1)
	v_clz_i32_u32_e32 v23, v21
	v_add_nc_u32_e32 v22, 1, v23
	s_delay_alu instid0(VALU_DEP_1) | instskip(NEXT) | instid1(VALU_DEP_1)
	v_cndmask_b32_e32 v14, 33, v22, vcc_lo
	v_sub_nc_u32_e32 v17, 32, v14
	s_delay_alu instid0(VALU_DEP_1) | instskip(SKIP_3) | instid1(VALU_DEP_3)
	v_alignbit_b32 v20, v21, v15, v17
	v_alignbit_b32 v13, v15, v13, v17
	v_lshrrev_b32_e32 v15, 29, v2
	v_lshrrev_b32_e32 v2, 30, v2
	v_alignbit_b32 v17, v20, v13, 9
	s_delay_alu instid0(VALU_DEP_3) | instskip(SKIP_1) | instid1(VALU_DEP_3)
	v_lshlrev_b32_e32 v15, 31, v15
	v_alignbit_b32 v20, v14, v20, 9
	v_clz_i32_u32_e32 v21, v17
	s_delay_alu instid0(VALU_DEP_2) | instskip(SKIP_1) | instid1(VALU_DEP_3)
	v_or_b32_e32 v20, v20, v15
	v_or_b32_e32 v15, 0x33800000, v15
	v_min_u32_e32 v21, 32, v21
	s_delay_alu instid0(VALU_DEP_3) | instskip(NEXT) | instid1(VALU_DEP_2)
	v_xor_b32_e32 v20, 1.0, v20
	v_sub_nc_u32_e32 v22, 31, v21
	v_add_lshl_u32 v14, v21, v14, 23
	s_delay_alu instid0(VALU_DEP_3) | instskip(NEXT) | instid1(VALU_DEP_3)
	v_mul_f32_e32 v21, 0x3fc90fda, v20
	v_alignbit_b32 v13, v17, v13, v22
	s_delay_alu instid0(VALU_DEP_3) | instskip(NEXT) | instid1(VALU_DEP_3)
	v_sub_nc_u32_e32 v14, v15, v14
	v_fma_f32 v15, 0x3fc90fda, v20, -v21
	s_delay_alu instid0(VALU_DEP_3) | instskip(NEXT) | instid1(VALU_DEP_2)
	v_lshrrev_b32_e32 v13, 9, v13
	v_fmac_f32_e32 v15, 0x33a22168, v20
	s_delay_alu instid0(VALU_DEP_2) | instskip(NEXT) | instid1(VALU_DEP_1)
	v_or_b32_e32 v13, v14, v13
	v_dual_fmac_f32 v15, 0x3fc90fda, v13 :: v_dual_add_nc_u32 v14, v19, v2
	s_delay_alu instid0(VALU_DEP_1)
	v_add_f32_e32 v13, v21, v15
.LBB7_12:                               ;   in Loop: Header=BB7_2 Depth=1
	s_or_saveexec_b32 s3, s29
	v_mul_f32_e64 v2, 0x3f22f983, |v10|
	s_delay_alu instid0(VALU_DEP_1)
	v_rndne_f32_e32 v2, v2
	s_xor_b32 exec_lo, exec_lo, s3
; %bb.13:                               ;   in Loop: Header=BB7_2 Depth=1
	s_delay_alu instid0(VALU_DEP_1) | instskip(SKIP_1) | instid1(VALU_DEP_2)
	v_fma_f32 v13, 0xbfc90fda, v2, |v10|
	v_cvt_i32_f32_e32 v14, v2
	v_fmac_f32_e32 v13, 0xb3a22168, v2
	s_delay_alu instid0(VALU_DEP_1)
	v_fmac_f32_e32 v13, 0xa7c234c4, v2
; %bb.14:                               ;   in Loop: Header=BB7_2 Depth=1
	s_or_b32 exec_lo, exec_lo, s3
                                        ; implicit-def: $vgpr17
                                        ; implicit-def: $vgpr15
	s_and_saveexec_b32 s3, s11
	s_delay_alu instid0(SALU_CYCLE_1)
	s_xor_b32 s11, exec_lo, s3
	s_cbranch_execz .LBB7_16
; %bb.15:                               ;   in Loop: Header=BB7_2 Depth=1
	v_mad_u64_u32 v[19:20], null, 0xfe5163ab, v16, 0
	v_cmp_lt_u32_e32 vcc_lo, 63, v18
	v_cndmask_b32_e64 v15, 0, 0xffffffc0, vcc_lo
	s_delay_alu instid0(VALU_DEP_1) | instskip(NEXT) | instid1(VALU_DEP_1)
	v_dual_mov_b32 v2, v20 :: v_dual_add_nc_u32 v15, v15, v18
	v_mad_u64_u32 v[20:21], null, 0x3c439041, v16, v[2:3]
	s_delay_alu instid0(VALU_DEP_2) | instskip(NEXT) | instid1(VALU_DEP_2)
	v_cmp_lt_u32_e64 s3, 31, v15
	v_mov_b32_e32 v2, v21
	s_delay_alu instid0(VALU_DEP_1) | instskip(NEXT) | instid1(VALU_DEP_1)
	v_mad_u64_u32 v[21:22], null, 0xdb629599, v16, v[2:3]
	v_mov_b32_e32 v2, v22
	s_delay_alu instid0(VALU_DEP_1) | instskip(NEXT) | instid1(VALU_DEP_1)
	v_mad_u64_u32 v[22:23], null, 0xf534ddc0, v16, v[2:3]
	v_mov_b32_e32 v2, v23
	s_delay_alu instid0(VALU_DEP_1) | instskip(NEXT) | instid1(VALU_DEP_1)
	v_mad_u64_u32 v[23:24], null, 0xfc2757d1, v16, v[2:3]
	v_mov_b32_e32 v2, v24
	v_cndmask_b32_e64 v24, 0, 0xffffffe0, s3
	s_delay_alu instid0(VALU_DEP_2) | instskip(NEXT) | instid1(VALU_DEP_2)
	v_mad_u64_u32 v[17:18], null, 0x4e441529, v16, v[2:3]
	v_add_nc_u32_e32 v15, v24, v15
	s_delay_alu instid0(VALU_DEP_1) | instskip(NEXT) | instid1(VALU_DEP_3)
	v_cmp_lt_u32_e64 s4, 31, v15
	v_mov_b32_e32 v2, v18
	s_delay_alu instid0(VALU_DEP_1) | instskip(NEXT) | instid1(VALU_DEP_3)
	v_mad_u64_u32 v[24:25], null, 0xa2f9836e, v16, v[2:3]
	v_cndmask_b32_e64 v2, 0, 0xffffffe0, s4
	v_cndmask_b32_e32 v16, v17, v22, vcc_lo
	s_delay_alu instid0(VALU_DEP_2) | instskip(NEXT) | instid1(VALU_DEP_4)
	v_add_nc_u32_e32 v2, v2, v15
	v_dual_cndmask_b32 v18, v24, v23 :: v_dual_cndmask_b32 v17, v25, v17
	v_cndmask_b32_e32 v23, v23, v21, vcc_lo
	v_cndmask_b32_e32 v15, v22, v20, vcc_lo
	s_delay_alu instid0(VALU_DEP_4) | instskip(NEXT) | instid1(VALU_DEP_4)
	v_cmp_eq_u32_e64 s5, 0, v2
	v_cndmask_b32_e64 v20, v18, v16, s3
	v_cndmask_b32_e64 v17, v17, v18, s3
	;; [unrolled: 1-line block ×3, first 2 shown]
	v_sub_nc_u32_e32 v18, 32, v2
	v_cndmask_b32_e64 v22, v23, v15, s3
	s_delay_alu instid0(VALU_DEP_4) | instskip(NEXT) | instid1(VALU_DEP_4)
	v_cndmask_b32_e64 v17, v17, v20, s4
	v_cndmask_b32_e64 v20, v20, v16, s4
	s_delay_alu instid0(VALU_DEP_3) | instskip(NEXT) | instid1(VALU_DEP_2)
	v_cndmask_b32_e64 v16, v16, v22, s4
	v_alignbit_b32 v23, v17, v20, v18
	s_delay_alu instid0(VALU_DEP_2) | instskip(NEXT) | instid1(VALU_DEP_2)
	v_alignbit_b32 v24, v20, v16, v18
	v_cndmask_b32_e64 v2, v23, v17, s5
	v_cndmask_b32_e32 v17, v21, v19, vcc_lo
	s_delay_alu instid0(VALU_DEP_3) | instskip(NEXT) | instid1(VALU_DEP_3)
	v_cndmask_b32_e64 v19, v24, v20, s5
	v_bfe_u32 v20, v2, 29, 1
	s_delay_alu instid0(VALU_DEP_3) | instskip(NEXT) | instid1(VALU_DEP_3)
	v_cndmask_b32_e64 v15, v15, v17, s3
	v_alignbit_b32 v17, v2, v19, 30
	s_delay_alu instid0(VALU_DEP_3) | instskip(NEXT) | instid1(VALU_DEP_3)
	v_sub_nc_u32_e32 v21, 0, v20
	v_cndmask_b32_e64 v15, v22, v15, s4
	s_delay_alu instid0(VALU_DEP_2) | instskip(NEXT) | instid1(VALU_DEP_2)
	v_xor_b32_e32 v22, v17, v21
	v_alignbit_b32 v18, v16, v15, v18
	v_cmp_ne_u32_e32 vcc_lo, v17, v21
	s_delay_alu instid0(VALU_DEP_3) | instskip(NEXT) | instid1(VALU_DEP_3)
	v_clz_i32_u32_e32 v23, v22
	v_cndmask_b32_e64 v16, v18, v16, s5
	s_delay_alu instid0(VALU_DEP_2) | instskip(NEXT) | instid1(VALU_DEP_2)
	v_add_nc_u32_e32 v18, 1, v23
	v_alignbit_b32 v19, v19, v16, 30
	v_alignbit_b32 v15, v16, v15, 30
	s_delay_alu instid0(VALU_DEP_3) | instskip(NEXT) | instid1(VALU_DEP_3)
	v_cndmask_b32_e32 v17, 33, v18, vcc_lo
	v_xor_b32_e32 v16, v19, v21
	s_delay_alu instid0(VALU_DEP_3) | instskip(NEXT) | instid1(VALU_DEP_3)
	v_xor_b32_e32 v15, v15, v21
	v_sub_nc_u32_e32 v18, 32, v17
	s_delay_alu instid0(VALU_DEP_1) | instskip(NEXT) | instid1(VALU_DEP_3)
	v_alignbit_b32 v19, v22, v16, v18
	v_alignbit_b32 v15, v16, v15, v18
	v_lshrrev_b32_e32 v16, 29, v2
	v_lshrrev_b32_e32 v2, 30, v2
	s_delay_alu instid0(VALU_DEP_3) | instskip(NEXT) | instid1(VALU_DEP_3)
	v_alignbit_b32 v18, v19, v15, 9
	v_lshlrev_b32_e32 v16, 31, v16
	v_alignbit_b32 v19, v17, v19, 9
	s_delay_alu instid0(VALU_DEP_3) | instskip(NEXT) | instid1(VALU_DEP_2)
	v_clz_i32_u32_e32 v21, v18
	v_or_b32_e32 v19, v19, v16
	v_or_b32_e32 v16, 0x33800000, v16
	s_delay_alu instid0(VALU_DEP_3) | instskip(NEXT) | instid1(VALU_DEP_3)
	v_min_u32_e32 v21, 32, v21
	v_xor_b32_e32 v19, 1.0, v19
	s_delay_alu instid0(VALU_DEP_2) | instskip(SKIP_1) | instid1(VALU_DEP_3)
	v_sub_nc_u32_e32 v22, 31, v21
	v_add_lshl_u32 v17, v21, v17, 23
	v_mul_f32_e32 v21, 0x3fc90fda, v19
	s_delay_alu instid0(VALU_DEP_3) | instskip(NEXT) | instid1(VALU_DEP_3)
	v_alignbit_b32 v15, v18, v15, v22
	v_sub_nc_u32_e32 v16, v16, v17
	s_delay_alu instid0(VALU_DEP_3) | instskip(NEXT) | instid1(VALU_DEP_3)
	v_fma_f32 v17, 0x3fc90fda, v19, -v21
	v_lshrrev_b32_e32 v15, 9, v15
	s_delay_alu instid0(VALU_DEP_2) | instskip(NEXT) | instid1(VALU_DEP_2)
	v_fmac_f32_e32 v17, 0x33a22168, v19
	v_or_b32_e32 v15, v16, v15
	s_delay_alu instid0(VALU_DEP_1) | instskip(NEXT) | instid1(VALU_DEP_1)
	v_fmac_f32_e32 v17, 0x3fc90fda, v15
	v_add_f32_e32 v15, v21, v17
	v_add_nc_u32_e32 v17, v20, v2
                                        ; implicit-def: $vgpr2
	s_and_not1_saveexec_b32 s3, s11
	s_cbranch_execnz .LBB7_17
	s_branch .LBB7_18
.LBB7_16:                               ;   in Loop: Header=BB7_2 Depth=1
	s_and_not1_saveexec_b32 s3, s11
.LBB7_17:                               ;   in Loop: Header=BB7_2 Depth=1
	v_fma_f32 v15, 0xbfc90fda, v2, |v10|
	v_cvt_i32_f32_e32 v17, v2
	s_delay_alu instid0(VALU_DEP_2) | instskip(NEXT) | instid1(VALU_DEP_1)
	v_fmac_f32_e32 v15, 0xb3a22168, v2
	v_fmac_f32_e32 v15, 0xa7c234c4, v2
.LBB7_18:                               ;   in Loop: Header=BB7_2 Depth=1
	s_or_b32 exec_lo, exec_lo, s3
	v_add_co_u32 v18, vcc_lo, s20, v0
	v_add_co_ci_u32_e32 v19, vcc_lo, s21, v1, vcc_lo
                                        ; implicit-def: $vgpr20
	global_load_b32 v16, v[18:19], off
                                        ; implicit-def: $vgpr19
	s_waitcnt vmcnt(0)
	v_and_b32_e32 v18, 0x7fffffff, v16
	v_cmp_ngt_f32_e64 s11, 0x48000000, |v16|
	s_delay_alu instid0(VALU_DEP_2) | instskip(SKIP_1) | instid1(VALU_DEP_2)
	v_lshrrev_b32_e32 v2, 23, v18
	v_and_or_b32 v21, v18, s8, 0x800000
	v_add_nc_u32_e32 v22, 0xffffff88, v2
	s_delay_alu instid0(VALU_DEP_4) | instskip(NEXT) | instid1(SALU_CYCLE_1)
	s_and_saveexec_b32 s3, s11
	s_xor_b32 s29, exec_lo, s3
	s_cbranch_execz .LBB7_20
; %bb.19:                               ;   in Loop: Header=BB7_2 Depth=1
	v_mad_u64_u32 v[19:20], null, 0xfe5163ab, v21, 0
	v_cmp_lt_u32_e32 vcc_lo, 63, v22
	s_delay_alu instid0(VALU_DEP_2) | instskip(SKIP_1) | instid1(VALU_DEP_2)
	v_mov_b32_e32 v2, v20
	v_cndmask_b32_e64 v20, 0, 0xffffffc0, vcc_lo
	v_mad_u64_u32 v[23:24], null, 0x3c439041, v21, v[2:3]
	s_delay_alu instid0(VALU_DEP_2) | instskip(NEXT) | instid1(VALU_DEP_1)
	v_add_nc_u32_e32 v20, v20, v22
	v_cmp_lt_u32_e64 s3, 31, v20
	s_delay_alu instid0(VALU_DEP_3) | instskip(NEXT) | instid1(VALU_DEP_2)
	v_mov_b32_e32 v2, v24
	v_cndmask_b32_e64 v29, 0, 0xffffffe0, s3
	s_delay_alu instid0(VALU_DEP_2) | instskip(NEXT) | instid1(VALU_DEP_2)
	v_mad_u64_u32 v[24:25], null, 0xdb629599, v21, v[2:3]
	v_add_nc_u32_e32 v20, v29, v20
	s_delay_alu instid0(VALU_DEP_2) | instskip(NEXT) | instid1(VALU_DEP_2)
	v_dual_mov_b32 v2, v25 :: v_dual_cndmask_b32 v19, v24, v19
	v_cmp_lt_u32_e64 s4, 31, v20
	s_delay_alu instid0(VALU_DEP_2) | instskip(NEXT) | instid1(VALU_DEP_1)
	v_mad_u64_u32 v[25:26], null, 0xf534ddc0, v21, v[2:3]
	v_mov_b32_e32 v2, v26
	s_delay_alu instid0(VALU_DEP_1) | instskip(NEXT) | instid1(VALU_DEP_1)
	v_mad_u64_u32 v[26:27], null, 0xfc2757d1, v21, v[2:3]
	v_mov_b32_e32 v2, v27
	s_delay_alu instid0(VALU_DEP_1) | instskip(NEXT) | instid1(VALU_DEP_1)
	v_mad_u64_u32 v[27:28], null, 0x4e441529, v21, v[2:3]
	v_mov_b32_e32 v2, v28
	s_delay_alu instid0(VALU_DEP_2) | instskip(NEXT) | instid1(VALU_DEP_2)
	v_cndmask_b32_e32 v30, v27, v25, vcc_lo
	v_mad_u64_u32 v[28:29], null, 0xa2f9836e, v21, v[2:3]
	v_cndmask_b32_e64 v2, 0, 0xffffffe0, s4
	s_delay_alu instid0(VALU_DEP_1) | instskip(NEXT) | instid1(VALU_DEP_3)
	v_add_nc_u32_e32 v2, v2, v20
	v_dual_cndmask_b32 v28, v28, v26 :: v_dual_cndmask_b32 v27, v29, v27
	v_cndmask_b32_e32 v26, v26, v24, vcc_lo
	v_cndmask_b32_e32 v20, v25, v23, vcc_lo
	s_delay_alu instid0(VALU_DEP_4) | instskip(NEXT) | instid1(VALU_DEP_4)
	v_cmp_eq_u32_e64 s5, 0, v2
	v_cndmask_b32_e64 v23, v28, v30, s3
	v_cndmask_b32_e64 v25, v27, v28, s3
	;; [unrolled: 1-line block ×3, first 2 shown]
	v_sub_nc_u32_e32 v28, 32, v2
	v_cndmask_b32_e64 v26, v26, v20, s3
	v_cndmask_b32_e64 v19, v20, v19, s3
	;; [unrolled: 1-line block ×4, first 2 shown]
	s_delay_alu instid0(VALU_DEP_4) | instskip(NEXT) | instid1(VALU_DEP_4)
	v_cndmask_b32_e64 v27, v27, v26, s4
	v_cndmask_b32_e64 v19, v26, v19, s4
	s_delay_alu instid0(VALU_DEP_3) | instskip(NEXT) | instid1(VALU_DEP_3)
	v_alignbit_b32 v29, v25, v23, v28
	v_alignbit_b32 v30, v23, v27, v28
	s_delay_alu instid0(VALU_DEP_3) | instskip(NEXT) | instid1(VALU_DEP_3)
	v_alignbit_b32 v28, v27, v19, v28
	v_cndmask_b32_e64 v2, v29, v25, s5
	s_delay_alu instid0(VALU_DEP_3) | instskip(NEXT) | instid1(VALU_DEP_3)
	v_cndmask_b32_e64 v23, v30, v23, s5
	v_cndmask_b32_e64 v27, v28, v27, s5
	s_delay_alu instid0(VALU_DEP_3) | instskip(NEXT) | instid1(VALU_DEP_3)
	v_bfe_u32 v24, v2, 29, 1
	v_alignbit_b32 v20, v2, v23, 30
	s_delay_alu instid0(VALU_DEP_3) | instskip(SKIP_1) | instid1(VALU_DEP_4)
	v_alignbit_b32 v23, v23, v27, 30
	v_alignbit_b32 v19, v27, v19, 30
	v_sub_nc_u32_e32 v25, 0, v24
	s_delay_alu instid0(VALU_DEP_1) | instskip(SKIP_3) | instid1(VALU_DEP_4)
	v_xor_b32_e32 v26, v20, v25
	v_cmp_ne_u32_e32 vcc_lo, v20, v25
	v_xor_b32_e32 v23, v23, v25
	v_xor_b32_e32 v19, v19, v25
	v_clz_i32_u32_e32 v29, v26
	s_delay_alu instid0(VALU_DEP_1) | instskip(NEXT) | instid1(VALU_DEP_1)
	v_add_nc_u32_e32 v28, 1, v29
	v_cndmask_b32_e32 v20, 33, v28, vcc_lo
	s_delay_alu instid0(VALU_DEP_1) | instskip(NEXT) | instid1(VALU_DEP_1)
	v_sub_nc_u32_e32 v27, 32, v20
	v_alignbit_b32 v25, v26, v23, v27
	v_alignbit_b32 v19, v23, v19, v27
	v_lshrrev_b32_e32 v23, 29, v2
	v_lshrrev_b32_e32 v2, 30, v2
	s_delay_alu instid0(VALU_DEP_3) | instskip(NEXT) | instid1(VALU_DEP_3)
	v_alignbit_b32 v26, v25, v19, 9
	v_lshlrev_b32_e32 v23, 31, v23
	v_alignbit_b32 v25, v20, v25, 9
	s_delay_alu instid0(VALU_DEP_3) | instskip(NEXT) | instid1(VALU_DEP_2)
	v_clz_i32_u32_e32 v27, v26
	v_or_b32_e32 v25, v25, v23
	v_or_b32_e32 v23, 0x33800000, v23
	s_delay_alu instid0(VALU_DEP_3) | instskip(NEXT) | instid1(VALU_DEP_3)
	v_min_u32_e32 v27, 32, v27
	v_xor_b32_e32 v25, 1.0, v25
	s_delay_alu instid0(VALU_DEP_2) | instskip(SKIP_1) | instid1(VALU_DEP_3)
	v_sub_nc_u32_e32 v28, 31, v27
	v_add_lshl_u32 v20, v27, v20, 23
	v_mul_f32_e32 v27, 0x3fc90fda, v25
	s_delay_alu instid0(VALU_DEP_3) | instskip(NEXT) | instid1(VALU_DEP_3)
	v_alignbit_b32 v19, v26, v19, v28
	v_sub_nc_u32_e32 v20, v23, v20
	s_delay_alu instid0(VALU_DEP_3) | instskip(NEXT) | instid1(VALU_DEP_3)
	v_fma_f32 v23, 0x3fc90fda, v25, -v27
	v_lshrrev_b32_e32 v19, 9, v19
	s_delay_alu instid0(VALU_DEP_2) | instskip(NEXT) | instid1(VALU_DEP_2)
	v_fmac_f32_e32 v23, 0x33a22168, v25
	v_or_b32_e32 v19, v20, v19
	s_delay_alu instid0(VALU_DEP_1) | instskip(NEXT) | instid1(VALU_DEP_1)
	v_dual_fmac_f32 v23, 0x3fc90fda, v19 :: v_dual_add_nc_u32 v20, v24, v2
	v_add_f32_e32 v19, v27, v23
.LBB7_20:                               ;   in Loop: Header=BB7_2 Depth=1
	s_or_saveexec_b32 s3, s29
	v_mul_f32_e64 v2, 0x3f22f983, |v16|
	s_delay_alu instid0(VALU_DEP_1)
	v_rndne_f32_e32 v24, v2
	s_xor_b32 exec_lo, exec_lo, s3
; %bb.21:                               ;   in Loop: Header=BB7_2 Depth=1
	s_delay_alu instid0(VALU_DEP_1) | instskip(SKIP_1) | instid1(VALU_DEP_2)
	v_fma_f32 v19, 0xbfc90fda, v24, |v16|
	v_cvt_i32_f32_e32 v20, v24
	v_fmac_f32_e32 v19, 0xb3a22168, v24
	s_delay_alu instid0(VALU_DEP_1)
	v_fmac_f32_e32 v19, 0xa7c234c4, v24
; %bb.22:                               ;   in Loop: Header=BB7_2 Depth=1
	s_or_b32 exec_lo, exec_lo, s3
                                        ; implicit-def: $vgpr23
                                        ; implicit-def: $vgpr2
	s_and_saveexec_b32 s3, s11
	s_delay_alu instid0(SALU_CYCLE_1)
	s_xor_b32 s11, exec_lo, s3
	s_cbranch_execz .LBB7_24
; %bb.23:                               ;   in Loop: Header=BB7_2 Depth=1
	v_mad_u64_u32 v[23:24], null, 0xfe5163ab, v21, 0
	v_cmp_lt_u32_e32 vcc_lo, 63, v22
	v_cndmask_b32_e64 v29, 0, 0xffffffc0, vcc_lo
	s_delay_alu instid0(VALU_DEP_3) | instskip(NEXT) | instid1(VALU_DEP_2)
	v_mov_b32_e32 v2, v24
	v_add_nc_u32_e32 v22, v29, v22
	s_delay_alu instid0(VALU_DEP_2) | instskip(NEXT) | instid1(VALU_DEP_2)
	v_mad_u64_u32 v[24:25], null, 0x3c439041, v21, v[2:3]
	v_cmp_lt_u32_e64 s3, 31, v22
	s_delay_alu instid0(VALU_DEP_2) | instskip(NEXT) | instid1(VALU_DEP_2)
	v_mov_b32_e32 v2, v25
	v_cndmask_b32_e64 v30, 0, 0xffffffe0, s3
	s_delay_alu instid0(VALU_DEP_2) | instskip(NEXT) | instid1(VALU_DEP_2)
	v_mad_u64_u32 v[25:26], null, 0xdb629599, v21, v[2:3]
	v_add_nc_u32_e32 v22, v30, v22
	s_delay_alu instid0(VALU_DEP_1) | instskip(NEXT) | instid1(VALU_DEP_3)
	v_cmp_lt_u32_e64 s4, 31, v22
	v_dual_mov_b32 v2, v26 :: v_dual_cndmask_b32 v23, v25, v23
	s_delay_alu instid0(VALU_DEP_1) | instskip(NEXT) | instid1(VALU_DEP_1)
	v_mad_u64_u32 v[26:27], null, 0xf534ddc0, v21, v[2:3]
	v_mov_b32_e32 v2, v27
	s_delay_alu instid0(VALU_DEP_1) | instskip(NEXT) | instid1(VALU_DEP_1)
	v_mad_u64_u32 v[27:28], null, 0xfc2757d1, v21, v[2:3]
	v_mov_b32_e32 v2, v28
	;; [unrolled: 3-line block ×3, first 2 shown]
	s_delay_alu instid0(VALU_DEP_1) | instskip(SKIP_1) | instid1(VALU_DEP_4)
	v_mad_u64_u32 v[29:30], null, 0xa2f9836e, v21, v[2:3]
	v_cndmask_b32_e64 v2, 0, 0xffffffe0, s4
	v_cndmask_b32_e32 v21, v28, v26, vcc_lo
	s_delay_alu instid0(VALU_DEP_2) | instskip(NEXT) | instid1(VALU_DEP_4)
	v_dual_cndmask_b32 v29, v29, v27 :: v_dual_add_nc_u32 v2, v2, v22
	v_dual_cndmask_b32 v28, v30, v28 :: v_dual_cndmask_b32 v27, v27, v25
	v_cndmask_b32_e32 v22, v26, v24, vcc_lo
	s_delay_alu instid0(VALU_DEP_3) | instskip(NEXT) | instid1(VALU_DEP_4)
	v_cmp_eq_u32_e64 s5, 0, v2
	v_cndmask_b32_e64 v24, v29, v21, s3
	s_delay_alu instid0(VALU_DEP_4)
	v_cndmask_b32_e64 v26, v28, v29, s3
	v_cndmask_b32_e64 v21, v21, v27, s3
	v_sub_nc_u32_e32 v28, 32, v2
	v_cndmask_b32_e64 v27, v27, v22, s3
	v_cndmask_b32_e64 v22, v22, v23, s3
	v_cndmask_b32_e64 v26, v26, v24, s4
	v_cndmask_b32_e64 v24, v24, v21, s4
	s_delay_alu instid0(VALU_DEP_4) | instskip(NEXT) | instid1(VALU_DEP_4)
	v_cndmask_b32_e64 v21, v21, v27, s4
	v_cndmask_b32_e64 v22, v27, v22, s4
	s_delay_alu instid0(VALU_DEP_3) | instskip(NEXT) | instid1(VALU_DEP_3)
	v_alignbit_b32 v29, v26, v24, v28
	v_alignbit_b32 v30, v24, v21, v28
	s_delay_alu instid0(VALU_DEP_3) | instskip(NEXT) | instid1(VALU_DEP_3)
	v_alignbit_b32 v28, v21, v22, v28
	v_cndmask_b32_e64 v2, v29, v26, s5
	s_delay_alu instid0(VALU_DEP_3) | instskip(NEXT) | instid1(VALU_DEP_3)
	v_cndmask_b32_e64 v24, v30, v24, s5
	v_cndmask_b32_e64 v21, v28, v21, s5
	s_delay_alu instid0(VALU_DEP_3) | instskip(NEXT) | instid1(VALU_DEP_3)
	v_bfe_u32 v25, v2, 29, 1
	v_alignbit_b32 v23, v2, v24, 30
	s_delay_alu instid0(VALU_DEP_3) | instskip(SKIP_1) | instid1(VALU_DEP_4)
	v_alignbit_b32 v24, v24, v21, 30
	v_alignbit_b32 v21, v21, v22, 30
	v_sub_nc_u32_e32 v26, 0, v25
	s_delay_alu instid0(VALU_DEP_1) | instskip(SKIP_3) | instid1(VALU_DEP_4)
	v_xor_b32_e32 v27, v23, v26
	v_cmp_ne_u32_e32 vcc_lo, v23, v26
	v_xor_b32_e32 v22, v24, v26
	v_xor_b32_e32 v21, v21, v26
	v_clz_i32_u32_e32 v29, v27
	s_delay_alu instid0(VALU_DEP_1) | instskip(NEXT) | instid1(VALU_DEP_1)
	v_add_nc_u32_e32 v28, 1, v29
	v_cndmask_b32_e32 v23, 33, v28, vcc_lo
	s_delay_alu instid0(VALU_DEP_1) | instskip(NEXT) | instid1(VALU_DEP_1)
	v_sub_nc_u32_e32 v24, 32, v23
	v_alignbit_b32 v26, v27, v22, v24
	v_alignbit_b32 v21, v22, v21, v24
	v_lshrrev_b32_e32 v22, 29, v2
	s_delay_alu instid0(VALU_DEP_2) | instskip(NEXT) | instid1(VALU_DEP_2)
	v_alignbit_b32 v24, v26, v21, 9
	v_lshlrev_b32_e32 v22, 31, v22
	v_alignbit_b32 v26, v23, v26, 9
	s_delay_alu instid0(VALU_DEP_3) | instskip(NEXT) | instid1(VALU_DEP_2)
	v_clz_i32_u32_e32 v27, v24
	v_or_b32_e32 v26, v26, v22
	v_or_b32_e32 v22, 0x33800000, v22
	s_delay_alu instid0(VALU_DEP_3) | instskip(NEXT) | instid1(VALU_DEP_3)
	v_min_u32_e32 v27, 32, v27
	v_xor_b32_e32 v26, 1.0, v26
	s_delay_alu instid0(VALU_DEP_2) | instskip(SKIP_1) | instid1(VALU_DEP_3)
	v_sub_nc_u32_e32 v28, 31, v27
	v_add_lshl_u32 v23, v27, v23, 23
	v_mul_f32_e32 v27, 0x3fc90fda, v26
	s_delay_alu instid0(VALU_DEP_3) | instskip(NEXT) | instid1(VALU_DEP_3)
	v_alignbit_b32 v21, v24, v21, v28
	v_sub_nc_u32_e32 v22, v22, v23
	s_delay_alu instid0(VALU_DEP_3) | instskip(NEXT) | instid1(VALU_DEP_3)
	v_fma_f32 v23, 0x3fc90fda, v26, -v27
                                        ; implicit-def: $vgpr24
	v_lshrrev_b32_e32 v21, 9, v21
	s_delay_alu instid0(VALU_DEP_2) | instskip(NEXT) | instid1(VALU_DEP_2)
	v_fmac_f32_e32 v23, 0x33a22168, v26
	v_or_b32_e32 v21, v22, v21
	s_delay_alu instid0(VALU_DEP_1) | instskip(SKIP_1) | instid1(VALU_DEP_1)
	v_fmac_f32_e32 v23, 0x3fc90fda, v21
	v_lshrrev_b32_e32 v21, 30, v2
	v_dual_add_f32 v2, v27, v23 :: v_dual_add_nc_u32 v23, v25, v21
	s_and_not1_saveexec_b32 s3, s11
	s_cbranch_execz .LBB7_1
	s_branch .LBB7_25
.LBB7_24:                               ;   in Loop: Header=BB7_2 Depth=1
	s_and_not1_saveexec_b32 s3, s11
	s_cbranch_execz .LBB7_1
.LBB7_25:                               ;   in Loop: Header=BB7_2 Depth=1
	v_fma_f32 v2, 0xbfc90fda, v24, |v16|
	v_cvt_i32_f32_e32 v23, v24
	s_delay_alu instid0(VALU_DEP_2) | instskip(NEXT) | instid1(VALU_DEP_1)
	v_fmac_f32_e32 v2, 0xb3a22168, v24
	v_fmac_f32_e32 v2, 0xa7c234c4, v24
	s_branch .LBB7_1
.LBB7_26:
	s_clause 0x1
	s_load_b64 s[4:5], s[0:1], 0x0
	s_load_b128 s[16:19], s[0:1], 0x48
	v_or_b32_e64 v8, 16, 8
	v_dual_mov_b32 v9, 0 :: v_dual_mov_b32 v10, 0x210
	s_mov_b32 s21, 0
	s_delay_alu instid0(SALU_CYCLE_1)
	s_mov_b32 s22, s21
	s_waitcnt lgkmcnt(0)
	s_max_i32 s24, s5, 1
	s_max_i32 s25, s4, 1
.LBB7_27:                               ; =>This Loop Header: Depth=1
                                        ;     Child Loop BB7_28 Depth 2
                                        ;     Child Loop BB7_30 Depth 2
                                        ;       Child Loop BB7_31 Depth 3
	s_mov_b32 s23, s21
	s_delay_alu instid0(SALU_CYCLE_1) | instskip(NEXT) | instid1(SALU_CYCLE_1)
	s_lshl_b64 s[0:1], s[22:23], 4
	s_add_u32 s0, s14, s0
	s_addc_u32 s1, s15, s1
	global_load_b128 v[4:7], v9, s[0:1]
	s_mov_b32 s0, s21
	s_mov_b32 s1, s21
	s_waitcnt vmcnt(0)
	v_ashrrev_i32_e32 v1, 31, v7
	v_mov_b32_e32 v0, v7
	s_delay_alu instid0(VALU_DEP_1) | instskip(NEXT) | instid1(VALU_DEP_1)
	v_lshlrev_b64 v[0:1], 4, v[0:1]
	v_add_co_u32 v0, vcc_lo, s18, v0
	s_delay_alu instid0(VALU_DEP_2)
	v_add_co_ci_u32_e32 v1, vcc_lo, s19, v1, vcc_lo
	global_load_b128 v[0:3], v[0:1], off
.LBB7_28:                               ;   Parent Loop BB7_27 Depth=1
                                        ; =>  This Inner Loop Header: Depth=2
	s_add_i32 s4, s1, 0x210
	v_readfirstlane_b32 s3, v10
	scratch_load_b128 v[11:14], off, s4
	v_add_nc_u32_e64 v7, 0x1a10, s0
	s_add_i32 s3, s3, s1
	s_addk_i32 s1, 0xc0
	s_add_i32 s4, s3, 16
	s_add_i32 s5, s3, 32
	;; [unrolled: 1-line block ×10, first 2 shown]
	s_addk_i32 s3, 0xb0
	s_clause 0xa
	scratch_load_b128 v[15:18], off, s4
	scratch_load_b128 v[19:22], off, s5
	scratch_load_b128 v[23:26], off, s6
	scratch_load_b128 v[27:30], off, s7
	scratch_load_b128 v[31:34], off, s8
	scratch_load_b128 v[35:38], off, s9
	scratch_load_b128 v[39:42], off, s10
	scratch_load_b128 v[47:50], off, s11
	scratch_load_b128 v[51:54], off, s20
	scratch_load_b128 v[55:58], off, s23
	scratch_load_b128 v[59:62], off, s3
	s_add_i32 s3, s0, 0x1a10
	s_add_i32 s0, s0, 48
	s_cmpk_eq_i32 s1, 0x1800
	s_waitcnt vmcnt(11)
	v_fma_f32 v63, v4, v11, v14
	s_waitcnt vmcnt(10)
	v_fma_f32 v64, v4, v15, v18
	;; [unrolled: 2-line block ×4, first 2 shown]
	v_add_nc_u32_e32 v71, 16, v7
	v_add_nc_u32_e32 v7, 32, v7
	s_waitcnt vmcnt(7)
	v_fma_f32 v67, v4, v27, v30
	s_waitcnt vmcnt(6)
	v_fma_f32 v68, v4, v31, v34
	v_fmac_f32_e32 v66, v5, v24
	s_waitcnt vmcnt(5)
	v_fma_f32 v69, v4, v35, v38
	s_waitcnt vmcnt(4)
	v_fma_f32 v70, v4, v39, v42
	v_fmac_f32_e32 v64, v5, v16
	v_fmac_f32_e32 v63, v5, v12
	v_dual_fmac_f32 v65, v5, v20 :: v_dual_fmac_f32 v66, v6, v25
	s_waitcnt vmcnt(3)
	v_fma_f32 v42, v4, v47, v50
	s_waitcnt vmcnt(2)
	v_fma_f32 v43, v4, v51, v54
	;; [unrolled: 2-line block ×4, first 2 shown]
	v_fmac_f32_e32 v68, v5, v32
	v_fmac_f32_e32 v67, v5, v28
	v_dual_fmac_f32 v70, v5, v40 :: v_dual_fmac_f32 v65, v6, v21
	v_dual_fmac_f32 v69, v5, v36 :: v_dual_fmac_f32 v64, v6, v17
	v_fmac_f32_e32 v63, v6, v13
	v_fmac_f32_e32 v68, v6, v33
	v_dual_fmac_f32 v42, v5, v48 :: v_dual_fmac_f32 v67, v6, v29
	v_dual_fmac_f32 v43, v5, v52 :: v_dual_fmac_f32 v70, v6, v41
	;; [unrolled: 1-line block ×3, first 2 shown]
	s_delay_alu instid0(VALU_DEP_3) | instskip(NEXT) | instid1(VALU_DEP_3)
	v_dual_fmac_f32 v45, v5, v60 :: v_dual_fmac_f32 v42, v6, v49
	v_fmac_f32_e32 v43, v6, v53
	s_delay_alu instid0(VALU_DEP_3) | instskip(NEXT) | instid1(VALU_DEP_3)
	v_fmac_f32_e32 v44, v6, v57
	v_fmac_f32_e32 v45, v6, v61
	s_clause 0x2
	scratch_store_b128 off, v[63:66], s3
	scratch_store_b128 v71, v[67:70], off
	scratch_store_b128 v7, v[42:45], off
	s_cbranch_scc0 .LBB7_28
; %bb.29:                               ;   in Loop: Header=BB7_27 Depth=1
	v_cmp_gt_f32_e64 s0, 0, v2
	v_cmp_lt_f32_e64 s1, 0, v2
	v_cmp_eq_u32_e64 s3, 0x46, v0
	v_cmp_eq_u32_e64 s4, 0x45, v0
	s_mov_b32 s20, 0
	v_cndmask_b32_e64 v0, 1.0, 0x40b00000, s0
	v_cndmask_b32_e64 v11, 0xff7fffff, 1.0, s0
.LBB7_30:                               ;   Parent Loop BB7_27 Depth=1
                                        ; =>  This Loop Header: Depth=2
                                        ;       Child Loop BB7_31 Depth 3
	s_lshl_b64 s[6:7], s[20:21], 4
	s_mov_b32 s26, 0
	s_add_u32 s6, s12, s6
	s_addc_u32 s7, s13, s7
	global_load_b128 v[4:7], v9, s[6:7]
	s_waitcnt vmcnt(0)
	v_ashrrev_i32_e32 v13, 31, v7
	v_mov_b32_e32 v12, v7
	s_delay_alu instid0(VALU_DEP_1) | instskip(NEXT) | instid1(VALU_DEP_1)
	v_lshlrev_b64 v[12:13], 4, v[12:13]
	v_add_co_u32 v12, vcc_lo, s18, v12
	s_delay_alu instid0(VALU_DEP_2)
	v_add_co_ci_u32_e32 v13, vcc_lo, s19, v13, vcc_lo
	global_load_b128 v[13:16], v[12:13], off
	s_waitcnt vmcnt(0)
	v_add_f32_e32 v7, v1, v14
	v_cmp_gt_f32_e32 vcc_lo, 0, v15
	v_cmp_eq_u32_e64 s8, 0x46, v13
	v_cmp_eq_u32_e64 s9, 0x45, v13
	v_cmp_lt_f32_e64 s10, 0, v15
	v_div_scale_f32 v14, null, v7, v7, 1.0
	v_cndmask_b32_e32 v12, v11, v0, vcc_lo
	v_div_scale_f32 v22, s6, 1.0, v7, 1.0
	s_delay_alu instid0(VALU_DEP_3) | instskip(SKIP_1) | instid1(VALU_DEP_2)
	v_rcp_f32_e32 v18, v14
	s_and_b32 s11, vcc_lo, s1
	v_div_scale_f32 v17, null, v12, v12, 1.0
	s_and_b32 s10, s10, s0
	v_cmp_neq_f32_e64 s5, 0, v15
	s_mov_b32 vcc_lo, s6
	s_delay_alu instid0(VALU_DEP_2)
	v_rcp_f32_e32 v19, v17
	s_and_b32 s6, s8, s3
	s_or_b32 s23, s9, s4
	s_waitcnt_depctr 0xfff
	v_fma_f32 v20, -v14, v18, 1.0
	v_mul_f32_e32 v13, v3, v16
	v_cndmask_b32_e64 v16, v15, -v15, s11
	s_delay_alu instid0(VALU_DEP_3) | instskip(SKIP_1) | instid1(VALU_DEP_1)
	v_fmac_f32_e32 v18, v20, v18
	v_fma_f32 v21, -v17, v19, 1.0
	v_fmac_f32_e32 v19, v21, v19
	v_div_scale_f32 v20, s7, 1.0, v12, 1.0
	s_delay_alu instid0(VALU_DEP_4) | instskip(NEXT) | instid1(VALU_DEP_2)
	v_mul_f32_e32 v21, v22, v18
	v_mul_f32_e32 v23, v20, v19
	s_delay_alu instid0(VALU_DEP_2) | instskip(NEXT) | instid1(VALU_DEP_2)
	v_fma_f32 v24, -v14, v21, v22
	v_fma_f32 v25, -v17, v23, v20
	s_delay_alu instid0(VALU_DEP_2) | instskip(NEXT) | instid1(VALU_DEP_1)
	v_fmac_f32_e32 v21, v24, v18
	v_fma_f32 v14, -v14, v21, v22
	v_cndmask_b32_e64 v22, v2, -v2, s10
	s_delay_alu instid0(VALU_DEP_1) | instskip(NEXT) | instid1(VALU_DEP_1)
	v_dual_fmac_f32 v23, v25, v19 :: v_dual_add_f32 v16, v16, v22
	v_fma_f32 v15, -v17, v23, v20
	s_delay_alu instid0(VALU_DEP_4) | instskip(SKIP_2) | instid1(VALU_DEP_3)
	v_div_fmas_f32 v17, v14, v18, v21
	s_mov_b32 vcc_lo, s7
	v_cndmask_b32_e64 v14, 2.0, 4.0, s6
	v_div_fmas_f32 v18, v15, v19, v23
	v_cndmask_b32_e64 v15, 0.5, 0x3e800000, s6
	v_div_fixup_f32 v17, v17, v7, 1.0
	v_mov_b32_e32 v19, v8
	s_delay_alu instid0(VALU_DEP_4)
	v_div_fixup_f32 v18, v18, v12, 1.0
.LBB7_31:                               ;   Parent Loop BB7_27 Depth=1
                                        ;     Parent Loop BB7_30 Depth=2
                                        ; =>    This Inner Loop Header: Depth=3
	s_add_i32 s6, s26, 0x1a10
	v_add_nc_u32_e64 v24, 0x1a10, s26
	scratch_load_b128 v[20:23], off, s6
	s_add_i32 s26, s26, 48
	v_add_nc_u32_e32 v25, 16, v24
	s_waitcnt vmcnt(0)
	v_dual_sub_f32 v21, v21, v5 :: v_dual_add_nc_u32 v28, 32, v24
	v_sub_f32_e32 v22, v22, v6
	s_clause 0x1
	scratch_load_b128 v[24:27], v25, off
	scratch_load_b128 v[28:31], v28, off
	scratch_load_b128 v[32:35], v19, off offset:-8
	v_sub_f32_e32 v20, v20, v4
	v_sub_f32_e32 v23, v23, v4
	v_mul_f32_e32 v21, v21, v21
	s_waitcnt vmcnt(2)
	v_sub_f32_e32 v24, v24, v5
	s_waitcnt vmcnt(1)
	v_dual_sub_f32 v27, v27, v5 :: v_dual_sub_f32 v28, v28, v6
	v_dual_sub_f32 v29, v29, v4 :: v_dual_sub_f32 v30, v30, v5
	v_sub_f32_e32 v31, v31, v6
	v_fmac_f32_e32 v21, v20, v20
	v_mul_f32_e32 v20, v24, v24
	v_dual_mul_f32 v24, v27, v27 :: v_dual_sub_f32 v25, v25, v6
	v_sub_f32_e32 v26, v26, v4
	s_delay_alu instid0(VALU_DEP_3) | instskip(SKIP_1) | instid1(VALU_DEP_2)
	v_dual_mul_f32 v27, v30, v30 :: v_dual_fmac_f32 v20, v23, v23
	v_fmac_f32_e32 v21, v22, v22
	v_dual_fmac_f32 v24, v26, v26 :: v_dual_fmac_f32 v27, v29, v29
	s_delay_alu instid0(VALU_DEP_3) | instskip(NEXT) | instid1(VALU_DEP_3)
	v_fmac_f32_e32 v20, v25, v25
	v_mul_f32_e32 v22, 0x4f800000, v21
	v_cmp_gt_f32_e32 vcc_lo, 0xf800000, v21
	s_delay_alu instid0(VALU_DEP_4) | instskip(NEXT) | instid1(VALU_DEP_4)
	v_dual_fmac_f32 v27, v31, v31 :: v_dual_fmac_f32 v24, v28, v28
	v_cmp_gt_f32_e64 s8, 0xf800000, v20
	s_delay_alu instid0(VALU_DEP_4) | instskip(NEXT) | instid1(VALU_DEP_3)
	v_dual_cndmask_b32 v21, v21, v22 :: v_dual_mul_f32 v22, 0x4f800000, v20
	v_mul_f32_e32 v25, 0x4f800000, v27
	s_delay_alu instid0(VALU_DEP_4) | instskip(SKIP_1) | instid1(VALU_DEP_4)
	v_cmp_gt_f32_e64 s6, 0xf800000, v24
	v_cmp_gt_f32_e64 s7, 0xf800000, v27
	v_sqrt_f32_e32 v26, v21
	v_mul_f32_e32 v23, 0x4f800000, v24
	v_cndmask_b32_e64 v20, v20, v22, s8
	s_waitcnt_depctr 0xfff
	v_add_nc_u32_e32 v28, -1, v26
	v_cndmask_b32_e64 v22, v24, v23, s6
	v_sqrt_f32_e32 v24, v20
	v_add_nc_u32_e32 v29, 1, v26
	v_cndmask_b32_e64 v23, v27, v25, s7
	v_fma_f32 v30, -v28, v26, v21
	v_sqrt_f32_e32 v25, v22
	s_delay_alu instid0(VALU_DEP_3) | instskip(NEXT) | instid1(VALU_DEP_3)
	v_fma_f32 v31, -v29, v26, v21
	v_sqrt_f32_e32 v27, v23
	s_delay_alu instid0(VALU_DEP_2) | instskip(NEXT) | instid1(TRANS32_DEP_3)
	v_cmp_ge_f32_e64 s9, 0, v30
	v_add_nc_u32_e32 v36, -1, v24
	s_delay_alu instid0(VALU_DEP_2) | instskip(SKIP_1) | instid1(VALU_DEP_3)
	v_cndmask_b32_e64 v26, v26, v28, s9
	v_cmp_lt_f32_e64 s9, 0, v31
	v_fma_f32 v28, -v36, v24, v20
	s_delay_alu instid0(VALU_DEP_2) | instskip(SKIP_1) | instid1(VALU_DEP_3)
	v_cndmask_b32_e64 v26, v26, v29, s9
	v_add_nc_u32_e32 v37, 1, v24
	v_cmp_ge_f32_e64 s9, 0, v28
	s_delay_alu instid0(VALU_DEP_3) | instskip(NEXT) | instid1(VALU_DEP_3)
	v_mul_f32_e32 v28, 0x37800000, v26
	v_fma_f32 v30, -v37, v24, v20
	s_delay_alu instid0(VALU_DEP_3) | instskip(NEXT) | instid1(VALU_DEP_3)
	v_cndmask_b32_e64 v24, v24, v36, s9
	v_cndmask_b32_e32 v26, v26, v28, vcc_lo
	v_cmp_class_f32_e64 vcc_lo, v21, 0x260
	v_add_nc_u32_e32 v40, -1, v27
	v_cmp_lt_f32_e64 s11, 0, v30
	s_delay_alu instid0(VALU_DEP_4) | instskip(NEXT) | instid1(VALU_DEP_3)
	v_cndmask_b32_e32 v21, v26, v21, vcc_lo
	v_fma_f32 v43, -v40, v27, v23
	v_cmp_class_f32_e64 vcc_lo, v22, 0x260
	v_add_nc_u32_e32 v41, 1, v27
	v_add_nc_u32_e32 v38, -1, v25
	v_cndmask_b32_e64 v24, v24, v37, s11
	v_cmp_ge_f32_e64 s10, 0, v43
	v_add_nc_u32_e32 v39, 1, v25
	v_fma_f32 v44, -v41, v27, v23
	s_delay_alu instid0(VALU_DEP_4) | instskip(NEXT) | instid1(VALU_DEP_4)
	v_mul_f32_e32 v28, 0x37800000, v24
	v_cndmask_b32_e64 v27, v27, v40, s10
	s_delay_alu instid0(VALU_DEP_4) | instskip(NEXT) | instid1(VALU_DEP_4)
	v_fma_f32 v42, -v39, v25, v22
	v_cmp_lt_f32_e64 s10, 0, v44
	s_delay_alu instid0(VALU_DEP_4) | instskip(NEXT) | instid1(VALU_DEP_2)
	v_cndmask_b32_e64 v24, v24, v28, s8
	v_cndmask_b32_e64 v27, v27, v41, s10
	s_delay_alu instid0(VALU_DEP_1) | instskip(NEXT) | instid1(VALU_DEP_1)
	v_mul_f32_e32 v30, 0x37800000, v27
	v_cndmask_b32_e64 v26, v27, v30, s7
	v_sub_f32_e32 v27, v21, v7
	v_fma_f32 v31, -v38, v25, v22
	v_cmp_class_f32_e64 s7, v20, 0x260
	v_fma_f32 v21, -v17, v21, 1.0
	s_delay_alu instid0(VALU_DEP_4) | instskip(NEXT) | instid1(VALU_DEP_4)
	v_fma_f32 v28, -v18, v27, 1.0
	v_cmp_ge_f32_e64 s9, 0, v31
	s_delay_alu instid0(VALU_DEP_4) | instskip(NEXT) | instid1(VALU_DEP_2)
	v_cndmask_b32_e64 v20, v24, v20, s7
	v_cndmask_b32_e64 v25, v25, v38, s9
	v_cmp_lt_f32_e64 s9, 0, v42
	s_delay_alu instid0(VALU_DEP_1) | instskip(NEXT) | instid1(VALU_DEP_1)
	v_cndmask_b32_e64 v25, v25, v39, s9
	v_mul_f32_e32 v29, 0x37800000, v25
	s_delay_alu instid0(VALU_DEP_1) | instskip(SKIP_1) | instid1(VALU_DEP_2)
	v_cndmask_b32_e64 v25, v25, v29, s6
	v_cmp_class_f32_e64 s6, v23, 0x260
	v_cndmask_b32_e32 v22, v25, v22, vcc_lo
	s_delay_alu instid0(VALU_DEP_2) | instskip(SKIP_3) | instid1(VALU_DEP_3)
	v_cndmask_b32_e64 v23, v26, v23, s6
	v_cmp_lt_f32_e64 s6, v27, v14
	v_cmp_gt_f32_e32 vcc_lo, 0, v27
	v_fma_f32 v25, -v15, v27, 1.0
	v_cndmask_b32_e64 v26, 0, 1.0, s6
	v_cmp_lt_f32_e64 s6, v27, v12
	v_cndmask_b32_e64 v24, 0, 0x42980000, vcc_lo
	s_delay_alu instid0(VALU_DEP_2) | instskip(SKIP_1) | instid1(VALU_DEP_1)
	s_and_b32 s6, s5, s6
	s_waitcnt vmcnt(0)
	v_fma_f32 v32, v21, v24, v32
	v_cndmask_b32_e64 v24, 0, 1.0, s6
	v_sub_f32_e32 v29, v22, v7
	v_cndmask_b32_e64 v21, v25, 1.0, vcc_lo
	v_cndmask_b32_e64 v25, v28, 1.0, vcc_lo
	v_fma_f32 v22, -v17, v22, 1.0
	v_mul_f32_e32 v24, v16, v24
	v_cmp_lt_f32_e64 s8, v29, v14
	v_dual_mul_f32 v21, v26, v21 :: v_dual_sub_f32 v30, v23, v7
	v_cmp_gt_f32_e64 s7, 0, v29
	v_fma_f32 v23, -v17, v23, 1.0
	s_delay_alu instid0(VALU_DEP_4) | instskip(NEXT) | instid1(VALU_DEP_4)
	v_cndmask_b32_e64 v39, 0, 1.0, s8
	v_mul_f32_e32 v21, v13, v21
	v_sub_f32_e32 v27, v20, v7
	v_cmp_gt_f32_e64 s9, 0, v30
	v_cmp_lt_f32_e64 s10, v30, v14
	v_fma_f32 v20, -v17, v20, 1.0
	v_fma_f32 v38, -v15, v29, 1.0
	v_cmp_lt_f32_e64 s6, v27, v14
	v_cmp_gt_f32_e32 vcc_lo, 0, v27
	v_fma_f32 v31, -v15, v27, 1.0
	v_fma_f32 v37, -v18, v27, 1.0
	;; [unrolled: 1-line block ×3, first 2 shown]
	v_cndmask_b32_e64 v36, 0, 1.0, s6
	v_cmp_lt_f32_e64 s6, v27, v12
	v_cndmask_b32_e64 v28, 0, 0x42980000, vcc_lo
	v_cndmask_b32_e64 v27, 0, 0x42980000, s7
	v_cmp_lt_f32_e64 s8, v29, v12
	v_cndmask_b32_e64 v29, 0, 0x42980000, s9
	v_fma_f32 v41, -v15, v30, 1.0
	v_cndmask_b32_e64 v42, 0, 1.0, s10
	v_cmp_lt_f32_e64 s10, v30, v12
	s_and_b32 s6, s5, s6
	v_fma_f32 v33, v20, v28, v33
	v_cndmask_b32_e64 v20, v31, 1.0, vcc_lo
	v_cndmask_b32_e64 v26, 0, 1.0, s6
	v_fma_f32 v34, v22, v27, v34
	v_cndmask_b32_e64 v22, v38, 1.0, s7
	s_delay_alu instid0(VALU_DEP_4)
	v_dual_fmac_f32 v35, v23, v29 :: v_dual_mul_f32 v20, v36, v20
	v_cndmask_b32_e64 v23, v41, 1.0, s9
	s_and_b32 s6, s5, s8
	v_mul_f32_e32 v26, v16, v26
	v_cndmask_b32_e64 v27, 0, 1.0, s6
	s_and_b32 s6, s5, s10
	v_mul_f32_e32 v23, v42, v23
	v_cndmask_b32_e64 v29, 0, 1.0, s6
	s_delay_alu instid0(VALU_DEP_3) | instskip(SKIP_2) | instid1(VALU_DEP_3)
	v_dual_mul_f32 v22, v39, v22 :: v_dual_mul_f32 v27, v16, v27
	v_mul_f32_e32 v20, v13, v20
	v_cndmask_b32_e64 v21, v21, -|v21|, s23
	v_dual_mul_f32 v29, v16, v29 :: v_dual_mul_f32 v22, v13, v22
	v_mul_f32_e32 v23, v13, v23
	v_fma_f32 v43, -v18, v30, 1.0
	s_delay_alu instid0(VALU_DEP_4)
	v_fmac_f32_e32 v32, 0x42340000, v21
	v_cndmask_b32_e64 v20, v20, -|v20|, s23
	v_cndmask_b32_e64 v22, v22, -|v22|, s23
	;; [unrolled: 1-line block ×3, first 2 shown]
	v_cndmask_b32_e64 v28, v37, 1.0, vcc_lo
	v_cndmask_b32_e64 v30, v40, 1.0, s7
	v_cndmask_b32_e64 v31, v43, 1.0, s9
	v_dual_fmac_f32 v33, 0x42340000, v20 :: v_dual_fmac_f32 v34, 0x42340000, v22
	v_dual_fmac_f32 v35, 0x42340000, v23 :: v_dual_fmac_f32 v32, v25, v24
	s_cmpk_eq_i32 s26, 0x600
	s_delay_alu instid0(VALU_DEP_2) | instskip(NEXT) | instid1(VALU_DEP_2)
	v_dual_fmac_f32 v33, v28, v26 :: v_dual_fmac_f32 v34, v30, v27
	v_fmac_f32_e32 v35, v31, v29
	scratch_store_b128 v19, v[32:35], off offset:-8
	v_add_nc_u32_e32 v19, 16, v19
	s_cbranch_scc0 .LBB7_31
; %bb.32:                               ;   in Loop: Header=BB7_30 Depth=2
	s_add_i32 s20, s20, 1
	s_delay_alu instid0(SALU_CYCLE_1)
	s_cmp_eq_u32 s20, s24
	s_cbranch_scc0 .LBB7_30
; %bb.33:                               ;   in Loop: Header=BB7_27 Depth=1
	s_add_i32 s22, s22, 1
	s_delay_alu instid0(SALU_CYCLE_1)
	s_cmp_lg_u32 s22, s25
	s_cbranch_scc1 .LBB7_27
; %bb.34:
	s_and_saveexec_b32 s0, s2
	s_cbranch_execz .LBB7_36
; %bb.35:
	s_clause 0x8
	scratch_load_b128 v[0:3], off, off offset:16
	scratch_load_b128 v[8:11], off, off offset:32
	;; [unrolled: 1-line block ×9, first 2 shown]
	v_mov_b32_e32 v47, 0
	scratch_load_b128 v[4:7], off, off offset:160
	v_lshlrev_b64 v[16:17], 2, v[46:47]
	v_add_nc_u32_e32 v46, s28, v46
	s_delay_alu instid0(VALU_DEP_1) | instskip(SKIP_1) | instid1(VALU_DEP_4)
	v_lshlrev_b64 v[42:43], 2, v[46:47]
	v_add_nc_u32_e32 v46, s28, v46
	v_add_co_u32 v44, vcc_lo, s16, v16
	v_add_co_ci_u32_e32 v45, vcc_lo, s17, v17, vcc_lo
	s_delay_alu instid0(VALU_DEP_4)
	v_add_co_u32 v42, vcc_lo, s16, v42
	v_add_co_ci_u32_e32 v43, vcc_lo, s17, v43, vcc_lo
	s_waitcnt vmcnt(9)
	v_mul_f32_e32 v55, 0.5, v1
	v_lshlrev_b64 v[16:17], 2, v[46:47]
	v_dual_mul_f32 v111, 0.5, v3 :: v_dual_add_nc_u32 v46, s28, v46
	s_waitcnt vmcnt(4)
	v_dual_mul_f32 v54, 0.5, v0 :: v_dual_mul_f32 v1, 0.5, v26
	v_mul_f32_e32 v113, 0.5, v9
	s_delay_alu instid0(VALU_DEP_3) | instskip(SKIP_3) | instid1(VALU_DEP_3)
	v_lshlrev_b64 v[48:49], 2, v[46:47]
	v_add_nc_u32_e32 v46, s28, v46
	v_add_co_u32 v60, vcc_lo, s16, v16
	v_add_co_ci_u32_e32 v61, vcc_lo, s17, v17, vcc_lo
	v_lshlrev_b64 v[16:17], 2, v[46:47]
	v_dual_mul_f32 v115, 0.5, v11 :: v_dual_add_nc_u32 v46, s28, v46
	v_add_co_u32 v62, vcc_lo, s16, v48
	v_add_co_ci_u32_e32 v63, vcc_lo, s17, v49, vcc_lo
	s_delay_alu instid0(VALU_DEP_3) | instskip(SKIP_3) | instid1(VALU_DEP_3)
	v_lshlrev_b64 v[48:49], 2, v[46:47]
	v_dual_mul_f32 v117, 0.5, v13 :: v_dual_add_nc_u32 v46, s28, v46
	v_add_co_u32 v70, vcc_lo, s16, v16
	v_add_co_ci_u32_e32 v71, vcc_lo, s17, v17, vcc_lo
	v_lshlrev_b64 v[16:17], 2, v[46:47]
	v_dual_mul_f32 v119, 0.5, v15 :: v_dual_add_nc_u32 v46, s28, v46
	v_add_co_u32 v72, vcc_lo, s16, v48
	v_add_co_ci_u32_e32 v73, vcc_lo, s17, v49, vcc_lo
	s_delay_alu instid0(VALU_DEP_3) | instskip(SKIP_3) | instid1(VALU_DEP_3)
	v_lshlrev_b64 v[48:49], 2, v[46:47]
	v_dual_mul_f32 v19, 0.5, v19 :: v_dual_add_nc_u32 v46, s28, v46
	;; [unrolled: 9-line block ×4, first 2 shown]
	v_add_co_u32 v96, vcc_lo, s16, v16
	v_add_co_ci_u32_e32 v97, vcc_lo, s17, v17, vcc_lo
	v_lshlrev_b64 v[16:17], 2, v[46:47]
	s_waitcnt vmcnt(3)
	v_dual_mul_f32 v75, 0.5, v31 :: v_dual_add_nc_u32 v46, s28, v46
	v_add_co_u32 v98, vcc_lo, s16, v48
	v_add_co_ci_u32_e32 v99, vcc_lo, s17, v49, vcc_lo
	s_delay_alu instid0(VALU_DEP_3) | instskip(SKIP_3) | instid1(VALU_DEP_3)
	v_lshlrev_b64 v[48:49], 2, v[46:47]
	v_dual_mul_f32 v77, 0.5, v33 :: v_dual_add_nc_u32 v46, s28, v46
	v_add_co_u32 v100, vcc_lo, s16, v16
	v_add_co_ci_u32_e32 v101, vcc_lo, s17, v17, vcc_lo
	v_lshlrev_b64 v[16:17], 2, v[46:47]
	s_waitcnt vmcnt(2)
	v_dual_mul_f32 v79, 0.5, v35 :: v_dual_add_nc_u32 v46, s28, v46
	v_add_co_u32 v102, vcc_lo, s16, v48
	v_add_co_ci_u32_e32 v103, vcc_lo, s17, v49, vcc_lo
	s_delay_alu instid0(VALU_DEP_3) | instskip(SKIP_3) | instid1(VALU_DEP_3)
	v_lshlrev_b64 v[48:49], 2, v[46:47]
	v_dual_mul_f32 v81, 0.5, v37 :: v_dual_add_nc_u32 v46, s28, v46
	;; [unrolled: 10-line block ×3, first 2 shown]
	v_add_co_u32 v108, vcc_lo, s16, v16
	v_add_co_ci_u32_e32 v109, vcc_lo, s17, v17, vcc_lo
	v_lshlrev_b64 v[50:51], 2, v[46:47]
	v_add_nc_u32_e32 v46, s28, v46
	v_add_co_u32 v16, vcc_lo, s16, v48
	v_add_co_ci_u32_e32 v17, vcc_lo, s17, v49, vcc_lo
	s_delay_alu instid0(VALU_DEP_3) | instskip(SKIP_3) | instid1(VALU_DEP_3)
	v_lshlrev_b64 v[48:49], 2, v[46:47]
	v_add_nc_u32_e32 v46, s28, v46
	v_add_co_u32 v66, vcc_lo, s16, v50
	v_add_co_ci_u32_e32 v67, vcc_lo, s17, v51, vcc_lo
	v_lshlrev_b64 v[50:51], 2, v[46:47]
	v_add_nc_u32_e32 v46, s28, v46
	v_add_co_u32 v68, vcc_lo, s16, v48
	v_add_co_ci_u32_e32 v69, vcc_lo, s17, v49, vcc_lo
	s_delay_alu instid0(VALU_DEP_3)
	v_lshlrev_b64 v[48:49], 2, v[46:47]
	v_mul_f32_e32 v122, 0.5, v22
	v_mul_f32_e32 v76, 0.5, v32
	;; [unrolled: 1-line block ×5, first 2 shown]
	s_clause 0x1
	global_store_b32 v[44:45], v54, off
	global_store_b32 v[42:43], v55, off
	scratch_load_b128 v[42:45], off, off offset:208
	v_add_nc_u32_e32 v46, s28, v46
	s_clause 0x1
	scratch_load_b128 v[38:41], off, off offset:224
	scratch_load_b128 v[32:35], off, off offset:240
	v_mul_f32_e32 v120, 0.5, v20
	scratch_load_b128 v[20:23], off, off offset:192
	v_add_co_u32 v64, vcc_lo, s16, v50
	v_add_co_ci_u32_e32 v65, vcc_lo, s17, v51, vcc_lo
	v_lshlrev_b64 v[50:51], 2, v[46:47]
	v_add_nc_u32_e32 v46, s28, v46
	v_add_co_u32 v52, vcc_lo, s16, v48
	v_mul_f32_e32 v112, 0.5, v8
	v_add_co_ci_u32_e32 v53, vcc_lo, s17, v49, vcc_lo
	s_delay_alu instid0(VALU_DEP_4)
	v_lshlrev_b64 v[8:9], 2, v[46:47]
	v_add_nc_u32_e32 v46, s28, v46
	v_add_co_u32 v50, vcc_lo, s16, v50
	v_add_co_ci_u32_e32 v51, vcc_lo, s17, v51, vcc_lo
	v_mul_f32_e32 v80, 0.5, v36
	v_add_co_u32 v36, vcc_lo, s16, v8
	v_add_co_ci_u32_e32 v37, vcc_lo, s17, v9, vcc_lo
	v_lshlrev_b64 v[8:9], 2, v[46:47]
	v_add_nc_u32_e32 v46, s28, v46
	v_mul_f32_e32 v0, 0.5, v27
	v_mul_f32_e32 v86, 0.5, v29
	;; [unrolled: 1-line block ×3, first 2 shown]
	scratch_load_b128 v[28:31], off, off offset:256
	v_add_co_u32 v48, vcc_lo, s16, v8
	v_add_co_ci_u32_e32 v49, vcc_lo, s17, v9, vcc_lo
	v_lshlrev_b64 v[8:9], 2, v[46:47]
	v_add_nc_u32_e32 v46, s28, v46
	v_mul_f32_e32 v110, 0.5, v2
	v_mul_f32_e32 v2, 0.5, v25
	scratch_load_b128 v[24:27], off, off offset:272
	v_mul_f32_e32 v114, 0.5, v10
	v_lshlrev_b64 v[10:11], 2, v[46:47]
	v_add_nc_u32_e32 v46, s28, v46
	v_add_co_u32 v54, vcc_lo, s16, v8
	v_add_co_ci_u32_e32 v55, vcc_lo, s17, v9, vcc_lo
	s_delay_alu instid0(VALU_DEP_3) | instskip(SKIP_3) | instid1(VALU_DEP_4)
	v_lshlrev_b64 v[8:9], 2, v[46:47]
	v_add_co_u32 v56, vcc_lo, s16, v10
	v_add_nc_u32_e32 v46, s28, v46
	v_add_co_ci_u32_e32 v57, vcc_lo, s17, v11, vcc_lo
	v_add_co_u32 v58, vcc_lo, s16, v8
	v_add_co_ci_u32_e32 v59, vcc_lo, s17, v9, vcc_lo
	s_delay_alu instid0(VALU_DEP_4)
	v_lshlrev_b64 v[8:9], 2, v[46:47]
	v_add_nc_u32_e32 v46, s28, v46
	s_clause 0x1
	global_store_b32 v[60:61], v110, off
	global_store_b32 v[62:63], v111, off
	v_mul_f32_e32 v116, 0.5, v12
	v_mul_f32_e32 v118, 0.5, v14
	v_lshlrev_b64 v[10:11], 2, v[46:47]
	v_add_co_u32 v60, vcc_lo, s16, v8
	v_add_co_ci_u32_e32 v61, vcc_lo, s17, v9, vcc_lo
	v_add_nc_u32_e32 v46, s28, v46
	s_delay_alu instid0(VALU_DEP_4)
	v_add_co_u32 v62, vcc_lo, s16, v10
	v_add_co_ci_u32_e32 v63, vcc_lo, s17, v11, vcc_lo
	scratch_load_b128 v[8:11], off, off offset:176
	v_lshlrev_b64 v[12:13], 2, v[46:47]
	v_add_nc_u32_e32 v46, s28, v46
	v_mul_f32_e32 v18, 0.5, v18
	s_clause 0x2
	global_store_b32 v[70:71], v112, off
	global_store_b32 v[72:73], v113, off
	;; [unrolled: 1-line block ×3, first 2 shown]
	v_lshlrev_b64 v[14:15], 2, v[46:47]
	v_add_nc_u32_e32 v46, s28, v46
	v_add_co_u32 v70, vcc_lo, s16, v12
	v_add_co_ci_u32_e32 v71, vcc_lo, s17, v13, vcc_lo
	s_delay_alu instid0(VALU_DEP_3)
	v_lshlrev_b64 v[12:13], 2, v[46:47]
	v_add_nc_u32_e32 v46, s28, v46
	s_clause 0xa
	global_store_b32 v[90:91], v115, off
	global_store_b32 v[92:93], v116, off
	;; [unrolled: 1-line block ×11, first 2 shown]
	scratch_load_b128 v[16:19], off, off offset:288
	v_add_co_u32 v72, vcc_lo, s16, v14
	v_add_co_ci_u32_e32 v73, vcc_lo, s17, v15, vcc_lo
	v_lshlrev_b64 v[14:15], 2, v[46:47]
	v_add_nc_u32_e32 v46, s28, v46
	v_add_co_u32 v88, vcc_lo, s16, v12
	v_add_co_ci_u32_e32 v89, vcc_lo, s17, v13, vcc_lo
	s_delay_alu instid0(VALU_DEP_3) | instskip(SKIP_3) | instid1(VALU_DEP_3)
	v_lshlrev_b64 v[12:13], 2, v[46:47]
	v_add_nc_u32_e32 v46, s28, v46
	v_add_co_u32 v90, vcc_lo, s16, v14
	v_add_co_ci_u32_e32 v91, vcc_lo, s17, v15, vcc_lo
	v_lshlrev_b64 v[14:15], 2, v[46:47]
	v_add_nc_u32_e32 v46, s28, v46
	v_add_co_u32 v92, vcc_lo, s16, v12
	v_add_co_ci_u32_e32 v93, vcc_lo, s17, v13, vcc_lo
	s_delay_alu instid0(VALU_DEP_3)
	v_lshlrev_b64 v[12:13], 2, v[46:47]
	v_add_co_u32 v94, vcc_lo, s16, v14
	v_add_co_ci_u32_e32 v95, vcc_lo, s17, v15, vcc_lo
	global_store_b32 v[66:67], v3, off
	v_add_co_u32 v66, vcc_lo, s16, v12
	v_add_co_ci_u32_e32 v67, vcc_lo, s17, v13, vcc_lo
	scratch_load_b128 v[12:15], off, off offset:304
	v_add_nc_u32_e32 v46, s28, v46
	s_clause 0x3
	global_store_b32 v[68:69], v2, off
	global_store_b32 v[64:65], v1, off
	;; [unrolled: 1-line block ×4, first 2 shown]
	v_lshlrev_b64 v[2:3], 2, v[46:47]
	v_add_nc_u32_e32 v46, s28, v46
	s_waitcnt vmcnt(9)
	v_mul_f32_e32 v52, 0.5, v4
	global_store_b32 v[36:37], v86, off
	v_dual_mul_f32 v53, 0.5, v5 :: v_dual_mul_f32 v6, 0.5, v6
	v_add_co_u32 v68, vcc_lo, s16, v2
	v_add_co_ci_u32_e32 v69, vcc_lo, s17, v3, vcc_lo
	scratch_load_b128 v[0:3], off, off offset:320
	v_lshlrev_b64 v[50:51], 2, v[46:47]
	v_add_nc_u32_e32 v46, s28, v46
	s_clause 0xb
	global_store_b32 v[48:49], v74, off
	global_store_b32 v[54:55], v75, off
	;; [unrolled: 1-line block ×12, first 2 shown]
	v_add_co_u32 v4, vcc_lo, s16, v50
	v_lshlrev_b64 v[36:37], 2, v[46:47]
	v_add_nc_u32_e32 v46, s28, v46
	v_add_co_ci_u32_e32 v5, vcc_lo, s17, v51, vcc_lo
	s_clause 0x2
	global_store_b32 v[66:67], v52, off
	global_store_b32 v[68:69], v53, off
	;; [unrolled: 1-line block ×3, first 2 shown]
	v_lshlrev_b64 v[4:5], 2, v[46:47]
	v_add_co_u32 v36, vcc_lo, s16, v36
	v_add_co_ci_u32_e32 v37, vcc_lo, s17, v37, vcc_lo
	v_mul_f32_e32 v52, 0.5, v7
	s_delay_alu instid0(VALU_DEP_4) | instskip(SKIP_3) | instid1(VALU_DEP_1)
	v_add_co_u32 v50, vcc_lo, s16, v4
	v_add_co_ci_u32_e32 v51, vcc_lo, s17, v5, vcc_lo
	scratch_load_b128 v[4:7], off, off offset:336
	v_add_nc_u32_e32 v46, s28, v46
	v_lshlrev_b64 v[48:49], 2, v[46:47]
	v_add_nc_u32_e32 v46, s28, v46
	s_waitcnt vmcnt(10)
	v_mul_f32_e32 v44, 0.5, v44
	s_waitcnt vmcnt(8)
	v_mul_f32_e32 v32, 0.5, v32
	;; [unrolled: 2-line block ×3, first 2 shown]
	s_waitcnt vmcnt(5)
	v_dual_mul_f32 v30, 0.5, v30 :: v_dual_mul_f32 v55, 0.5, v27
	s_waitcnt vmcnt(4)
	v_mul_f32_e32 v53, 0.5, v8
	v_add_co_u32 v8, vcc_lo, s16, v48
	v_mul_f32_e32 v54, 0.5, v9
	v_add_co_ci_u32_e32 v9, vcc_lo, s17, v49, vcc_lo
	v_lshlrev_b64 v[48:49], 2, v[46:47]
	v_add_nc_u32_e32 v46, s28, v46
	s_clause 0x2
	global_store_b32 v[36:37], v52, off
	global_store_b32 v[50:51], v53, off
	;; [unrolled: 1-line block ×3, first 2 shown]
	v_dual_mul_f32 v50, 0.5, v10 :: v_dual_mul_f32 v51, 0.5, v11
	v_mul_f32_e32 v52, 0.5, v23
	v_lshlrev_b64 v[8:9], 2, v[46:47]
	v_add_nc_u32_e32 v46, s28, v46
	v_add_co_u32 v36, vcc_lo, s16, v48
	v_add_co_ci_u32_e32 v37, vcc_lo, s17, v49, vcc_lo
	s_delay_alu instid0(VALU_DEP_3) | instskip(SKIP_3) | instid1(VALU_DEP_4)
	v_lshlrev_b64 v[10:11], 2, v[46:47]
	v_add_nc_u32_e32 v46, s28, v46
	v_add_co_u32 v8, vcc_lo, s16, v8
	v_add_co_ci_u32_e32 v9, vcc_lo, s17, v9, vcc_lo
	v_add_co_u32 v10, vcc_lo, s16, v10
	s_delay_alu instid0(VALU_DEP_4)
	v_lshlrev_b64 v[48:49], 2, v[46:47]
	v_add_nc_u32_e32 v46, s28, v46
	v_add_co_ci_u32_e32 v11, vcc_lo, s17, v11, vcc_lo
	s_clause 0x2
	global_store_b32 v[36:37], v50, off
	global_store_b32 v[8:9], v51, off
	;; [unrolled: 1-line block ×3, first 2 shown]
	v_mul_f32_e32 v50, 0.5, v21
	v_lshlrev_b64 v[20:21], 2, v[46:47]
	v_add_nc_u32_e32 v46, s28, v46
	v_add_co_u32 v36, vcc_lo, s16, v48
	scratch_load_b128 v[8:11], off, off offset:352
	v_add_co_ci_u32_e32 v37, vcc_lo, s17, v49, vcc_lo
	v_lshlrev_b64 v[48:49], 2, v[46:47]
	v_add_co_u32 v20, vcc_lo, s16, v20
	v_add_nc_u32_e32 v46, s28, v46
	v_add_co_ci_u32_e32 v21, vcc_lo, s17, v21, vcc_lo
	v_mul_f32_e32 v51, 0.5, v22
	v_add_co_u32 v22, vcc_lo, s16, v48
	v_add_co_ci_u32_e32 v23, vcc_lo, s17, v49, vcc_lo
	v_lshlrev_b64 v[48:49], 2, v[46:47]
	v_add_nc_u32_e32 v46, s28, v46
	s_clause 0x2
	global_store_b32 v[36:37], v50, off
	global_store_b32 v[20:21], v51, off
	;; [unrolled: 1-line block ×3, first 2 shown]
	v_dual_mul_f32 v52, 0.5, v42 :: v_dual_mul_f32 v53, 0.5, v43
	scratch_load_b128 v[20:23], off, off offset:368
	v_lshlrev_b64 v[36:37], 2, v[46:47]
	v_add_nc_u32_e32 v46, s28, v46
	v_add_co_u32 v48, vcc_lo, s16, v48
	v_add_co_ci_u32_e32 v49, vcc_lo, s17, v49, vcc_lo
	s_delay_alu instid0(VALU_DEP_3) | instskip(SKIP_3) | instid1(VALU_DEP_4)
	v_lshlrev_b64 v[42:43], 2, v[46:47]
	v_add_nc_u32_e32 v46, s28, v46
	v_add_co_u32 v36, vcc_lo, s16, v36
	v_add_co_ci_u32_e32 v37, vcc_lo, s17, v37, vcc_lo
	v_add_co_u32 v42, vcc_lo, s16, v42
	s_delay_alu instid0(VALU_DEP_4)
	v_lshlrev_b64 v[50:51], 2, v[46:47]
	v_add_nc_u32_e32 v46, s28, v46
	v_add_co_ci_u32_e32 v43, vcc_lo, s17, v43, vcc_lo
	s_clause 0x2
	global_store_b32 v[48:49], v52, off
	global_store_b32 v[36:37], v53, off
	;; [unrolled: 1-line block ×3, first 2 shown]
	v_lshlrev_b64 v[36:37], 2, v[46:47]
	v_add_nc_u32_e32 v46, s28, v46
	v_mul_f32_e32 v52, 0.5, v45
	v_add_co_u32 v42, vcc_lo, s16, v50
	v_add_co_ci_u32_e32 v43, vcc_lo, s17, v51, vcc_lo
	s_delay_alu instid0(VALU_DEP_4) | instskip(SKIP_3) | instid1(VALU_DEP_4)
	v_lshlrev_b64 v[44:45], 2, v[46:47]
	v_add_nc_u32_e32 v46, s28, v46
	v_add_co_u32 v48, vcc_lo, s16, v36
	v_add_co_ci_u32_e32 v49, vcc_lo, s17, v37, vcc_lo
	v_add_co_u32 v44, vcc_lo, s16, v44
	s_delay_alu instid0(VALU_DEP_4)
	v_lshlrev_b64 v[50:51], 2, v[46:47]
	v_add_nc_u32_e32 v46, s28, v46
	v_dual_mul_f32 v53, 0.5, v38 :: v_dual_mul_f32 v54, 0.5, v39
	scratch_load_b128 v[36:39], off, off offset:384
	v_add_co_ci_u32_e32 v45, vcc_lo, s17, v45, vcc_lo
	s_clause 0x2
	global_store_b32 v[42:43], v52, off
	global_store_b32 v[48:49], v53, off
	;; [unrolled: 1-line block ×3, first 2 shown]
	v_lshlrev_b64 v[42:43], 2, v[46:47]
	v_add_nc_u32_e32 v46, s28, v46
	v_mul_f32_e32 v48, 0.5, v40
	v_add_co_u32 v44, vcc_lo, s16, v50
	v_mul_f32_e32 v49, 0.5, v41
	s_delay_alu instid0(VALU_DEP_4)
	v_lshlrev_b64 v[40:41], 2, v[46:47]
	v_add_co_ci_u32_e32 v45, vcc_lo, s17, v51, vcc_lo
	v_add_nc_u32_e32 v46, s28, v46
	v_add_co_u32 v42, vcc_lo, s16, v42
	v_add_co_ci_u32_e32 v43, vcc_lo, s17, v43, vcc_lo
	v_add_co_u32 v40, vcc_lo, s16, v40
	global_store_b32 v[44:45], v48, off
	v_lshlrev_b64 v[44:45], 2, v[46:47]
	v_add_nc_u32_e32 v46, s28, v46
	v_add_co_ci_u32_e32 v41, vcc_lo, s17, v41, vcc_lo
	s_clause 0x1
	global_store_b32 v[42:43], v49, off
	global_store_b32 v[40:41], v32, off
	v_mul_f32_e32 v50, 0.5, v33
	v_lshlrev_b64 v[32:33], 2, v[46:47]
	v_add_nc_u32_e32 v46, s28, v46
	v_add_co_u32 v44, vcc_lo, s16, v44
	v_add_co_ci_u32_e32 v45, vcc_lo, s17, v45, vcc_lo
	s_delay_alu instid0(VALU_DEP_3)
	v_lshlrev_b64 v[48:49], 2, v[46:47]
	v_add_co_u32 v32, vcc_lo, s16, v32
	v_add_nc_u32_e32 v46, s28, v46
	scratch_load_b128 v[40:43], off, off offset:400
	v_add_co_ci_u32_e32 v33, vcc_lo, s17, v33, vcc_lo
	v_mul_f32_e32 v51, 0.5, v34
	v_add_co_u32 v34, vcc_lo, s16, v48
	v_mul_f32_e32 v52, 0.5, v35
	v_add_co_ci_u32_e32 v35, vcc_lo, s17, v49, vcc_lo
	v_lshlrev_b64 v[48:49], 2, v[46:47]
	v_add_nc_u32_e32 v46, s28, v46
	s_clause 0x2
	global_store_b32 v[44:45], v50, off
	global_store_b32 v[32:33], v51, off
	;; [unrolled: 1-line block ×3, first 2 shown]
	v_dual_mul_f32 v52, 0.5, v28 :: v_dual_mul_f32 v53, 0.5, v29
	scratch_load_b128 v[32:35], off, off offset:416
	v_lshlrev_b64 v[44:45], 2, v[46:47]
	v_add_nc_u32_e32 v46, s28, v46
	v_add_co_u32 v48, vcc_lo, s16, v48
	v_add_co_ci_u32_e32 v49, vcc_lo, s17, v49, vcc_lo
	s_delay_alu instid0(VALU_DEP_3) | instskip(SKIP_3) | instid1(VALU_DEP_4)
	v_lshlrev_b64 v[28:29], 2, v[46:47]
	v_add_nc_u32_e32 v46, s28, v46
	v_add_co_u32 v44, vcc_lo, s16, v44
	v_add_co_ci_u32_e32 v45, vcc_lo, s17, v45, vcc_lo
	v_add_co_u32 v28, vcc_lo, s16, v28
	s_delay_alu instid0(VALU_DEP_4)
	v_lshlrev_b64 v[50:51], 2, v[46:47]
	v_add_nc_u32_e32 v46, s28, v46
	v_add_co_ci_u32_e32 v29, vcc_lo, s17, v29, vcc_lo
	s_clause 0x2
	global_store_b32 v[48:49], v52, off
	global_store_b32 v[44:45], v53, off
	;; [unrolled: 1-line block ×3, first 2 shown]
	v_lshlrev_b64 v[44:45], 2, v[46:47]
	v_add_nc_u32_e32 v46, s28, v46
	v_add_co_u32 v48, vcc_lo, s16, v50
	v_add_co_ci_u32_e32 v49, vcc_lo, s17, v51, vcc_lo
	s_delay_alu instid0(VALU_DEP_3)
	v_lshlrev_b64 v[50:51], 2, v[46:47]
	v_add_co_u32 v44, vcc_lo, s16, v44
	v_add_nc_u32_e32 v46, s28, v46
	v_mul_f32_e32 v52, 0.5, v31
	scratch_load_b128 v[28:31], off, off offset:432
	v_add_co_ci_u32_e32 v45, vcc_lo, s17, v45, vcc_lo
	v_mul_f32_e32 v53, 0.5, v24
	v_add_co_u32 v24, vcc_lo, s16, v50
	v_mul_f32_e32 v54, 0.5, v25
	v_add_co_ci_u32_e32 v25, vcc_lo, s17, v51, vcc_lo
	v_lshlrev_b64 v[50:51], 2, v[46:47]
	v_add_nc_u32_e32 v46, s28, v46
	s_clause 0x2
	global_store_b32 v[48:49], v52, off
	global_store_b32 v[44:45], v53, off
	global_store_b32 v[24:25], v54, off
	v_mul_f32_e32 v54, 0.5, v26
	s_waitcnt vmcnt(9)
	v_mul_f32_e32 v16, 0.5, v16
	s_waitcnt vmcnt(8)
	v_mul_f32_e32 v14, 0.5, v14
	v_lshlrev_b64 v[24:25], 2, v[46:47]
	v_add_nc_u32_e32 v46, s28, v46
	v_add_co_u32 v44, vcc_lo, s16, v50
	v_add_co_ci_u32_e32 v45, vcc_lo, s17, v51, vcc_lo
	s_delay_alu instid0(VALU_DEP_3) | instskip(SKIP_3) | instid1(VALU_DEP_4)
	v_lshlrev_b64 v[26:27], 2, v[46:47]
	v_add_nc_u32_e32 v46, s28, v46
	v_add_co_u32 v48, vcc_lo, s16, v24
	v_add_co_ci_u32_e32 v49, vcc_lo, s17, v25, vcc_lo
	v_add_co_u32 v50, vcc_lo, s16, v26
	s_delay_alu instid0(VALU_DEP_4)
	v_lshlrev_b64 v[52:53], 2, v[46:47]
	v_add_nc_u32_e32 v46, s28, v46
	v_add_co_ci_u32_e32 v51, vcc_lo, s17, v27, vcc_lo
	scratch_load_b128 v[24:27], off, off offset:448
	s_clause 0x2
	global_store_b32 v[44:45], v54, off
	global_store_b32 v[48:49], v55, off
	;; [unrolled: 1-line block ×3, first 2 shown]
	v_mul_f32_e32 v50, 0.5, v17
	v_lshlrev_b64 v[16:17], 2, v[46:47]
	v_add_nc_u32_e32 v46, s28, v46
	v_add_co_u32 v44, vcc_lo, s16, v52
	v_add_co_ci_u32_e32 v45, vcc_lo, s17, v53, vcc_lo
	s_delay_alu instid0(VALU_DEP_3)
	v_lshlrev_b64 v[48:49], 2, v[46:47]
	v_add_co_u32 v16, vcc_lo, s16, v16
	v_add_nc_u32_e32 v46, s28, v46
	v_add_co_ci_u32_e32 v17, vcc_lo, s17, v17, vcc_lo
	v_mul_f32_e32 v51, 0.5, v18
	v_add_co_u32 v18, vcc_lo, s16, v48
	v_mul_f32_e32 v52, 0.5, v19
	v_add_co_ci_u32_e32 v19, vcc_lo, s17, v49, vcc_lo
	v_lshlrev_b64 v[48:49], 2, v[46:47]
	v_add_nc_u32_e32 v46, s28, v46
	s_clause 0x2
	global_store_b32 v[44:45], v50, off
	global_store_b32 v[16:17], v51, off
	;; [unrolled: 1-line block ×3, first 2 shown]
	scratch_load_b128 v[16:19], off, off offset:464
	v_dual_mul_f32 v52, 0.5, v12 :: v_dual_mul_f32 v53, 0.5, v13
	v_lshlrev_b64 v[44:45], 2, v[46:47]
	v_add_nc_u32_e32 v46, s28, v46
	v_add_co_u32 v48, vcc_lo, s16, v48
	v_add_co_ci_u32_e32 v49, vcc_lo, s17, v49, vcc_lo
	s_delay_alu instid0(VALU_DEP_3) | instskip(SKIP_3) | instid1(VALU_DEP_4)
	v_lshlrev_b64 v[12:13], 2, v[46:47]
	v_add_nc_u32_e32 v46, s28, v46
	v_add_co_u32 v44, vcc_lo, s16, v44
	v_add_co_ci_u32_e32 v45, vcc_lo, s17, v45, vcc_lo
	v_add_co_u32 v12, vcc_lo, s16, v12
	s_delay_alu instid0(VALU_DEP_4)
	v_lshlrev_b64 v[50:51], 2, v[46:47]
	v_add_nc_u32_e32 v46, s28, v46
	v_add_co_ci_u32_e32 v13, vcc_lo, s17, v13, vcc_lo
	s_clause 0x2
	global_store_b32 v[48:49], v52, off
	global_store_b32 v[44:45], v53, off
	;; [unrolled: 1-line block ×3, first 2 shown]
	v_lshlrev_b64 v[44:45], 2, v[46:47]
	v_add_nc_u32_e32 v46, s28, v46
	v_add_co_u32 v48, vcc_lo, s16, v50
	v_add_co_ci_u32_e32 v49, vcc_lo, s17, v51, vcc_lo
	s_delay_alu instid0(VALU_DEP_3)
	v_lshlrev_b64 v[50:51], 2, v[46:47]
	v_mul_f32_e32 v52, 0.5, v15
	scratch_load_b128 v[12:15], off, off offset:480
	v_add_co_u32 v44, vcc_lo, s16, v44
	v_add_nc_u32_e32 v46, s28, v46
	v_add_co_ci_u32_e32 v45, vcc_lo, s17, v45, vcc_lo
	s_waitcnt vmcnt(10)
	v_mul_f32_e32 v53, 0.5, v0
	v_add_co_u32 v0, vcc_lo, s16, v50
	v_mul_f32_e32 v54, 0.5, v1
	v_add_co_ci_u32_e32 v1, vcc_lo, s17, v51, vcc_lo
	v_lshlrev_b64 v[50:51], 2, v[46:47]
	v_add_nc_u32_e32 v46, s28, v46
	s_clause 0x2
	global_store_b32 v[48:49], v52, off
	global_store_b32 v[44:45], v53, off
	;; [unrolled: 1-line block ×3, first 2 shown]
	v_dual_mul_f32 v54, 0.5, v2 :: v_dual_mul_f32 v55, 0.5, v3
	s_waitcnt vmcnt(9)
	v_mul_f32_e32 v4, 0.5, v4
	v_lshlrev_b64 v[0:1], 2, v[46:47]
	v_add_nc_u32_e32 v46, s28, v46
	v_add_co_u32 v44, vcc_lo, s16, v50
	v_add_co_ci_u32_e32 v45, vcc_lo, s17, v51, vcc_lo
	s_delay_alu instid0(VALU_DEP_3) | instskip(SKIP_3) | instid1(VALU_DEP_4)
	v_lshlrev_b64 v[48:49], 2, v[46:47]
	v_add_nc_u32_e32 v46, s28, v46
	v_add_co_u32 v50, vcc_lo, s16, v0
	v_add_co_ci_u32_e32 v51, vcc_lo, s17, v1, vcc_lo
	v_add_co_u32 v48, vcc_lo, s16, v48
	s_delay_alu instid0(VALU_DEP_4)
	v_lshlrev_b64 v[52:53], 2, v[46:47]
	v_add_nc_u32_e32 v46, s28, v46
	scratch_load_b128 v[0:3], off, off offset:496
	v_add_co_ci_u32_e32 v49, vcc_lo, s17, v49, vcc_lo
	s_clause 0x2
	global_store_b32 v[44:45], v54, off
	global_store_b32 v[50:51], v55, off
	;; [unrolled: 1-line block ×3, first 2 shown]
	v_mul_f32_e32 v50, 0.5, v5
	v_lshlrev_b64 v[4:5], 2, v[46:47]
	v_add_nc_u32_e32 v46, s28, v46
	v_add_co_u32 v44, vcc_lo, s16, v52
	v_add_co_ci_u32_e32 v45, vcc_lo, s17, v53, vcc_lo
	s_delay_alu instid0(VALU_DEP_3) | instskip(SKIP_3) | instid1(VALU_DEP_4)
	v_lshlrev_b64 v[48:49], 2, v[46:47]
	v_add_co_u32 v4, vcc_lo, s16, v4
	v_add_co_ci_u32_e32 v5, vcc_lo, s17, v5, vcc_lo
	v_mul_f32_e32 v51, 0.5, v6
	v_add_co_u32 v6, vcc_lo, s16, v48
	v_mul_f32_e32 v52, 0.5, v7
	v_add_co_ci_u32_e32 v7, vcc_lo, s17, v49, vcc_lo
	s_clause 0x2
	global_store_b32 v[44:45], v50, off
	global_store_b32 v[4:5], v51, off
	;; [unrolled: 1-line block ×3, first 2 shown]
	scratch_load_b128 v[4:7], off, off offset:512
	v_add_nc_u32_e32 v46, s28, v46
	s_delay_alu instid0(VALU_DEP_1) | instskip(SKIP_1) | instid1(VALU_DEP_1)
	v_lshlrev_b64 v[44:45], 2, v[46:47]
	v_add_nc_u32_e32 v46, s28, v46
	v_lshlrev_b64 v[48:49], 2, v[46:47]
	v_add_nc_u32_e32 v46, s28, v46
	s_delay_alu instid0(VALU_DEP_4) | instskip(SKIP_1) | instid1(VALU_DEP_4)
	v_add_co_u32 v44, vcc_lo, s16, v44
	v_add_co_ci_u32_e32 v45, vcc_lo, s17, v45, vcc_lo
	v_add_co_u32 v48, vcc_lo, s16, v48
	v_add_co_ci_u32_e32 v49, vcc_lo, s17, v49, vcc_lo
	s_waitcnt vmcnt(10)
	v_dual_mul_f32 v52, 0.5, v8 :: v_dual_mul_f32 v53, 0.5, v9
	v_lshlrev_b64 v[8:9], 2, v[46:47]
	v_add_nc_u32_e32 v46, s28, v46
	v_mul_f32_e32 v10, 0.5, v10
	s_delay_alu instid0(VALU_DEP_3) | instskip(NEXT) | instid1(VALU_DEP_3)
	v_add_co_u32 v8, vcc_lo, s16, v8
	v_lshlrev_b64 v[50:51], 2, v[46:47]
	v_add_nc_u32_e32 v46, s28, v46
	v_add_co_ci_u32_e32 v9, vcc_lo, s17, v9, vcc_lo
	s_clause 0x2
	global_store_b32 v[44:45], v52, off
	global_store_b32 v[48:49], v53, off
	;; [unrolled: 1-line block ×3, first 2 shown]
	v_lshlrev_b64 v[8:9], 2, v[46:47]
	v_add_nc_u32_e32 v46, s28, v46
	v_add_co_u32 v10, vcc_lo, s16, v50
	v_mul_f32_e32 v48, 0.5, v11
	v_add_co_ci_u32_e32 v11, vcc_lo, s17, v51, vcc_lo
	s_delay_alu instid0(VALU_DEP_4)
	v_lshlrev_b64 v[44:45], 2, v[46:47]
	v_add_co_u32 v8, vcc_lo, s16, v8
	v_add_nc_u32_e32 v46, s28, v46
	v_add_co_ci_u32_e32 v9, vcc_lo, s17, v9, vcc_lo
	s_waitcnt vmcnt(9)
	v_mul_f32_e32 v49, 0.5, v20
	v_add_co_u32 v20, vcc_lo, s16, v44
	v_mul_f32_e32 v50, 0.5, v21
	v_add_co_ci_u32_e32 v21, vcc_lo, s17, v45, vcc_lo
	v_lshlrev_b64 v[44:45], 2, v[46:47]
	v_add_nc_u32_e32 v46, s28, v46
	s_clause 0x2
	global_store_b32 v[10:11], v48, off
	global_store_b32 v[8:9], v49, off
	global_store_b32 v[20:21], v50, off
	v_mul_f32_e32 v48, 0.5, v22
	v_lshlrev_b64 v[8:9], 2, v[46:47]
	v_add_nc_u32_e32 v46, s28, v46
	v_add_co_u32 v10, vcc_lo, s16, v44
	v_add_co_ci_u32_e32 v11, vcc_lo, s17, v45, vcc_lo
	s_delay_alu instid0(VALU_DEP_3)
	v_lshlrev_b64 v[20:21], 2, v[46:47]
	v_add_nc_u32_e32 v46, s28, v46
	v_add_co_u32 v8, vcc_lo, s16, v8
	v_add_co_ci_u32_e32 v9, vcc_lo, s17, v9, vcc_lo
	v_mul_f32_e32 v44, 0.5, v23
	v_add_co_u32 v20, vcc_lo, s16, v20
	v_lshlrev_b64 v[22:23], 2, v[46:47]
	v_add_nc_u32_e32 v46, s28, v46
	v_add_co_ci_u32_e32 v21, vcc_lo, s17, v21, vcc_lo
	s_waitcnt vmcnt(8)
	v_mul_f32_e32 v36, 0.5, v36
	s_clause 0x2
	global_store_b32 v[10:11], v48, off
	global_store_b32 v[8:9], v44, off
	;; [unrolled: 1-line block ×3, first 2 shown]
	v_lshlrev_b64 v[8:9], 2, v[46:47]
	v_add_nc_u32_e32 v46, s28, v46
	v_add_co_u32 v10, vcc_lo, s16, v22
	v_add_co_ci_u32_e32 v11, vcc_lo, s17, v23, vcc_lo
	s_delay_alu instid0(VALU_DEP_3)
	v_lshlrev_b64 v[20:21], 2, v[46:47]
	v_add_nc_u32_e32 v46, s28, v46
	v_add_co_u32 v8, vcc_lo, s16, v8
	v_add_co_ci_u32_e32 v9, vcc_lo, s17, v9, vcc_lo
	v_mul_f32_e32 v36, 0.5, v37
	v_add_co_u32 v20, vcc_lo, s16, v20
	v_lshlrev_b64 v[22:23], 2, v[46:47]
	v_add_nc_u32_e32 v46, s28, v46
	v_dual_mul_f32 v37, 0.5, v38 :: v_dual_mul_f32 v38, 0.5, v39
	v_add_co_ci_u32_e32 v21, vcc_lo, s17, v21, vcc_lo
	s_clause 0x2
	global_store_b32 v[10:11], v36, off
	global_store_b32 v[8:9], v37, off
	;; [unrolled: 1-line block ×3, first 2 shown]
	v_lshlrev_b64 v[8:9], 2, v[46:47]
	v_add_nc_u32_e32 v46, s28, v46
	v_add_co_u32 v10, vcc_lo, s16, v22
	v_add_co_ci_u32_e32 v11, vcc_lo, s17, v23, vcc_lo
	s_delay_alu instid0(VALU_DEP_3)
	v_lshlrev_b64 v[20:21], 2, v[46:47]
	v_add_nc_u32_e32 v46, s28, v46
	v_add_co_u32 v8, vcc_lo, s16, v8
	v_add_co_ci_u32_e32 v9, vcc_lo, s17, v9, vcc_lo
	s_waitcnt vmcnt(7)
	v_mul_f32_e32 v36, 0.5, v40
	v_add_co_u32 v20, vcc_lo, s16, v20
	v_lshlrev_b64 v[22:23], 2, v[46:47]
	v_dual_mul_f32 v37, 0.5, v41 :: v_dual_add_nc_u32 v46, s28, v46
	v_mul_f32_e32 v38, 0.5, v42
	v_add_co_ci_u32_e32 v21, vcc_lo, s17, v21, vcc_lo
	s_clause 0x2
	global_store_b32 v[10:11], v36, off
	global_store_b32 v[8:9], v37, off
	;; [unrolled: 1-line block ×3, first 2 shown]
	v_lshlrev_b64 v[8:9], 2, v[46:47]
	v_add_nc_u32_e32 v46, s28, v46
	v_add_co_u32 v10, vcc_lo, s16, v22
	v_add_co_ci_u32_e32 v11, vcc_lo, s17, v23, vcc_lo
	s_delay_alu instid0(VALU_DEP_3)
	v_lshlrev_b64 v[20:21], 2, v[46:47]
	v_add_nc_u32_e32 v46, s28, v46
	v_add_co_u32 v8, vcc_lo, s16, v8
	v_add_co_ci_u32_e32 v9, vcc_lo, s17, v9, vcc_lo
	v_mul_f32_e32 v36, 0.5, v43
	v_add_co_u32 v20, vcc_lo, s16, v20
	v_lshlrev_b64 v[22:23], 2, v[46:47]
	v_add_nc_u32_e32 v46, s28, v46
	s_waitcnt vmcnt(6)
	v_dual_mul_f32 v32, 0.5, v32 :: v_dual_mul_f32 v33, 0.5, v33
	v_add_co_ci_u32_e32 v21, vcc_lo, s17, v21, vcc_lo
	s_clause 0x2
	global_store_b32 v[10:11], v36, off
	global_store_b32 v[8:9], v32, off
	;; [unrolled: 1-line block ×3, first 2 shown]
	v_lshlrev_b64 v[8:9], 2, v[46:47]
	v_add_nc_u32_e32 v46, s28, v46
	v_add_co_u32 v10, vcc_lo, s16, v22
	v_add_co_ci_u32_e32 v11, vcc_lo, s17, v23, vcc_lo
	s_delay_alu instid0(VALU_DEP_3)
	v_lshlrev_b64 v[20:21], 2, v[46:47]
	v_add_nc_u32_e32 v46, s28, v46
	v_add_co_u32 v8, vcc_lo, s16, v8
	v_add_co_ci_u32_e32 v9, vcc_lo, s17, v9, vcc_lo
	v_mul_f32_e32 v32, 0.5, v34
	v_add_co_u32 v20, vcc_lo, s16, v20
	v_lshlrev_b64 v[22:23], 2, v[46:47]
	v_dual_mul_f32 v33, 0.5, v35 :: v_dual_add_nc_u32 v46, s28, v46
	s_waitcnt vmcnt(5)
	v_mul_f32_e32 v28, 0.5, v28
	v_add_co_ci_u32_e32 v21, vcc_lo, s17, v21, vcc_lo
	s_clause 0x2
	global_store_b32 v[10:11], v32, off
	global_store_b32 v[8:9], v33, off
	global_store_b32 v[20:21], v28, off
	v_lshlrev_b64 v[8:9], 2, v[46:47]
	v_add_nc_u32_e32 v46, s28, v46
	v_add_co_u32 v10, vcc_lo, s16, v22
	v_add_co_ci_u32_e32 v11, vcc_lo, s17, v23, vcc_lo
	s_delay_alu instid0(VALU_DEP_3)
	v_lshlrev_b64 v[20:21], 2, v[46:47]
	v_add_nc_u32_e32 v46, s28, v46
	v_add_co_u32 v8, vcc_lo, s16, v8
	v_add_co_ci_u32_e32 v9, vcc_lo, s17, v9, vcc_lo
	v_mul_f32_e32 v28, 0.5, v29
	v_add_co_u32 v20, vcc_lo, s16, v20
	v_lshlrev_b64 v[22:23], 2, v[46:47]
	v_add_nc_u32_e32 v46, s28, v46
	v_dual_mul_f32 v29, 0.5, v30 :: v_dual_mul_f32 v30, 0.5, v31
	v_add_co_ci_u32_e32 v21, vcc_lo, s17, v21, vcc_lo
	s_clause 0x2
	global_store_b32 v[10:11], v28, off
	global_store_b32 v[8:9], v29, off
	;; [unrolled: 1-line block ×3, first 2 shown]
	v_lshlrev_b64 v[8:9], 2, v[46:47]
	v_add_nc_u32_e32 v46, s28, v46
	v_add_co_u32 v10, vcc_lo, s16, v22
	v_add_co_ci_u32_e32 v11, vcc_lo, s17, v23, vcc_lo
	s_delay_alu instid0(VALU_DEP_3)
	v_lshlrev_b64 v[20:21], 2, v[46:47]
	v_add_nc_u32_e32 v46, s28, v46
	v_add_co_u32 v8, vcc_lo, s16, v8
	v_add_co_ci_u32_e32 v9, vcc_lo, s17, v9, vcc_lo
	s_waitcnt vmcnt(4)
	v_mul_f32_e32 v24, 0.5, v24
	v_add_co_u32 v20, vcc_lo, s16, v20
	v_lshlrev_b64 v[22:23], 2, v[46:47]
	v_dual_mul_f32 v25, 0.5, v25 :: v_dual_add_nc_u32 v46, s28, v46
	v_mul_f32_e32 v26, 0.5, v26
	v_add_co_ci_u32_e32 v21, vcc_lo, s17, v21, vcc_lo
	s_clause 0x2
	global_store_b32 v[10:11], v24, off
	global_store_b32 v[8:9], v25, off
	;; [unrolled: 1-line block ×3, first 2 shown]
	v_lshlrev_b64 v[8:9], 2, v[46:47]
	v_add_nc_u32_e32 v46, s28, v46
	v_add_co_u32 v10, vcc_lo, s16, v22
	v_add_co_ci_u32_e32 v11, vcc_lo, s17, v23, vcc_lo
	s_delay_alu instid0(VALU_DEP_3)
	v_lshlrev_b64 v[20:21], 2, v[46:47]
	v_add_co_u32 v8, vcc_lo, s16, v8
	v_add_nc_u32_e32 v46, s28, v46
	v_add_co_ci_u32_e32 v9, vcc_lo, s17, v9, vcc_lo
	s_waitcnt vmcnt(3)
	v_mul_f32_e32 v22, 0.5, v16
	v_add_co_u32 v16, vcc_lo, s16, v20
	v_dual_mul_f32 v24, 0.5, v27 :: v_dual_mul_f32 v23, 0.5, v17
	v_add_co_ci_u32_e32 v17, vcc_lo, s17, v21, vcc_lo
	v_lshlrev_b64 v[20:21], 2, v[46:47]
	v_add_nc_u32_e32 v46, s28, v46
	s_clause 0x2
	global_store_b32 v[10:11], v24, off
	global_store_b32 v[8:9], v22, off
	;; [unrolled: 1-line block ×3, first 2 shown]
	v_mul_f32_e32 v22, 0.5, v18
	v_lshlrev_b64 v[8:9], 2, v[46:47]
	v_add_nc_u32_e32 v46, s28, v46
	v_add_co_u32 v10, vcc_lo, s16, v20
	v_add_co_ci_u32_e32 v11, vcc_lo, s17, v21, vcc_lo
	s_delay_alu instid0(VALU_DEP_3)
	v_lshlrev_b64 v[16:17], 2, v[46:47]
	v_add_nc_u32_e32 v46, s28, v46
	v_add_co_u32 v8, vcc_lo, s16, v8
	v_add_co_ci_u32_e32 v9, vcc_lo, s17, v9, vcc_lo
	v_mul_f32_e32 v20, 0.5, v19
	v_add_co_u32 v16, vcc_lo, s16, v16
	v_lshlrev_b64 v[18:19], 2, v[46:47]
	v_add_nc_u32_e32 v46, s28, v46
	s_waitcnt vmcnt(2)
	v_mul_f32_e32 v12, 0.5, v12
	v_add_co_ci_u32_e32 v17, vcc_lo, s17, v17, vcc_lo
	s_clause 0x2
	global_store_b32 v[10:11], v22, off
	global_store_b32 v[8:9], v20, off
	;; [unrolled: 1-line block ×3, first 2 shown]
	v_lshlrev_b64 v[8:9], 2, v[46:47]
	v_add_nc_u32_e32 v46, s28, v46
	v_mul_f32_e32 v16, 0.5, v13
	v_add_co_u32 v10, vcc_lo, s16, v18
	v_add_co_ci_u32_e32 v11, vcc_lo, s17, v19, vcc_lo
	s_delay_alu instid0(VALU_DEP_4)
	v_lshlrev_b64 v[12:13], 2, v[46:47]
	v_add_nc_u32_e32 v46, s28, v46
	v_add_co_u32 v8, vcc_lo, s16, v8
	v_add_co_ci_u32_e32 v9, vcc_lo, s17, v9, vcc_lo
	v_dual_mul_f32 v17, 0.5, v14 :: v_dual_mul_f32 v18, 0.5, v15
	v_add_co_u32 v12, vcc_lo, s16, v12
	v_lshlrev_b64 v[14:15], 2, v[46:47]
	v_add_nc_u32_e32 v46, s28, v46
	v_add_co_ci_u32_e32 v13, vcc_lo, s17, v13, vcc_lo
	s_clause 0x2
	global_store_b32 v[10:11], v16, off
	global_store_b32 v[8:9], v17, off
	;; [unrolled: 1-line block ×3, first 2 shown]
	v_lshlrev_b64 v[8:9], 2, v[46:47]
	v_add_nc_u32_e32 v46, s28, v46
	s_waitcnt vmcnt(1)
	v_mul_f32_e32 v16, 0.5, v0
	v_add_co_u32 v10, vcc_lo, s16, v14
	v_mul_f32_e32 v14, 0.5, v1
	v_lshlrev_b64 v[0:1], 2, v[46:47]
	v_add_nc_u32_e32 v46, s28, v46
	v_add_co_ci_u32_e32 v11, vcc_lo, s17, v15, vcc_lo
	v_add_co_u32 v8, vcc_lo, s16, v8
	v_add_co_ci_u32_e32 v9, vcc_lo, s17, v9, vcc_lo
	v_add_co_u32 v0, vcc_lo, s16, v0
	v_lshlrev_b64 v[12:13], 2, v[46:47]
	v_add_nc_u32_e32 v46, s28, v46
	v_mul_f32_e32 v2, 0.5, v2
	v_add_co_ci_u32_e32 v1, vcc_lo, s17, v1, vcc_lo
	s_waitcnt vmcnt(0)
	v_mul_f32_e32 v15, 0.5, v6
	s_clause 0x2
	global_store_b32 v[10:11], v16, off
	global_store_b32 v[8:9], v14, off
	;; [unrolled: 1-line block ×3, first 2 shown]
	v_lshlrev_b64 v[0:1], 2, v[46:47]
	v_add_nc_u32_e32 v46, s28, v46
	v_add_co_u32 v2, vcc_lo, s16, v12
	v_mul_f32_e32 v14, 0.5, v3
	v_add_co_ci_u32_e32 v3, vcc_lo, s17, v13, vcc_lo
	s_delay_alu instid0(VALU_DEP_4) | instskip(SKIP_3) | instid1(VALU_DEP_3)
	v_lshlrev_b64 v[8:9], 2, v[46:47]
	v_add_nc_u32_e32 v46, s28, v46
	v_dual_mul_f32 v12, 0.5, v4 :: v_dual_mul_f32 v13, 0.5, v5
	v_add_co_u32 v0, vcc_lo, s16, v0
	v_lshlrev_b64 v[4:5], 2, v[46:47]
	v_add_nc_u32_e32 v46, s28, v46
	v_add_co_ci_u32_e32 v1, vcc_lo, s17, v1, vcc_lo
	v_add_co_u32 v8, vcc_lo, s16, v8
	s_delay_alu instid0(VALU_DEP_3) | instskip(SKIP_3) | instid1(VALU_DEP_4)
	v_lshlrev_b64 v[10:11], 2, v[46:47]
	v_add_co_ci_u32_e32 v9, vcc_lo, s17, v9, vcc_lo
	v_add_co_u32 v4, vcc_lo, s16, v4
	v_add_co_ci_u32_e32 v5, vcc_lo, s17, v5, vcc_lo
	v_add_co_u32 v6, vcc_lo, s16, v10
	v_mul_f32_e32 v16, 0.5, v7
	v_add_co_ci_u32_e32 v7, vcc_lo, s17, v11, vcc_lo
	s_clause 0x4
	global_store_b32 v[2:3], v14, off
	global_store_b32 v[0:1], v12, off
	;; [unrolled: 1-line block ×5, first 2 shown]
.LBB7_36:
	s_endpgm
	.section	.rodata,"a",@progbits
	.p2align	6, 0x0
	.amdhsa_kernel _ZL11fasten_mainILm128EEviiPK4AtomS2_PKfS4_S4_S4_S4_S4_PfPK8FFParamsi
		.amdhsa_group_segment_fixed_size 0
		.amdhsa_private_segment_fixed_size 8208
		.amdhsa_kernarg_size 352
		.amdhsa_user_sgpr_count 15
		.amdhsa_user_sgpr_dispatch_ptr 0
		.amdhsa_user_sgpr_queue_ptr 0
		.amdhsa_user_sgpr_kernarg_segment_ptr 1
		.amdhsa_user_sgpr_dispatch_id 0
		.amdhsa_user_sgpr_private_segment_size 0
		.amdhsa_wavefront_size32 1
		.amdhsa_uses_dynamic_stack 0
		.amdhsa_enable_private_segment 1
		.amdhsa_system_sgpr_workgroup_id_x 1
		.amdhsa_system_sgpr_workgroup_id_y 0
		.amdhsa_system_sgpr_workgroup_id_z 0
		.amdhsa_system_sgpr_workgroup_info 0
		.amdhsa_system_vgpr_workitem_id 0
		.amdhsa_next_free_vgpr 124
		.amdhsa_next_free_sgpr 30
		.amdhsa_reserve_vcc 1
		.amdhsa_float_round_mode_32 0
		.amdhsa_float_round_mode_16_64 0
		.amdhsa_float_denorm_mode_32 3
		.amdhsa_float_denorm_mode_16_64 3
		.amdhsa_dx10_clamp 1
		.amdhsa_ieee_mode 1
		.amdhsa_fp16_overflow 0
		.amdhsa_workgroup_processor_mode 1
		.amdhsa_memory_ordered 1
		.amdhsa_forward_progress 0
		.amdhsa_shared_vgpr_count 0
		.amdhsa_exception_fp_ieee_invalid_op 0
		.amdhsa_exception_fp_denorm_src 0
		.amdhsa_exception_fp_ieee_div_zero 0
		.amdhsa_exception_fp_ieee_overflow 0
		.amdhsa_exception_fp_ieee_underflow 0
		.amdhsa_exception_fp_ieee_inexact 0
		.amdhsa_exception_int_div_zero 0
	.end_amdhsa_kernel
	.section	.text._ZL11fasten_mainILm128EEviiPK4AtomS2_PKfS4_S4_S4_S4_S4_PfPK8FFParamsi,"axG",@progbits,_ZL11fasten_mainILm128EEviiPK4AtomS2_PKfS4_S4_S4_S4_S4_PfPK8FFParamsi,comdat
.Lfunc_end7:
	.size	_ZL11fasten_mainILm128EEviiPK4AtomS2_PKfS4_S4_S4_S4_S4_PfPK8FFParamsi, .Lfunc_end7-_ZL11fasten_mainILm128EEviiPK4AtomS2_PKfS4_S4_S4_S4_S4_PfPK8FFParamsi
                                        ; -- End function
	.section	.AMDGPU.csdata,"",@progbits
; Kernel info:
; codeLenInByte = 13560
; NumSgprs: 32
; NumVgprs: 124
; ScratchSize: 8208
; MemoryBound: 0
; FloatMode: 240
; IeeeMode: 1
; LDSByteSize: 0 bytes/workgroup (compile time only)
; SGPRBlocks: 3
; VGPRBlocks: 15
; NumSGPRsForWavesPerEU: 32
; NumVGPRsForWavesPerEU: 124
; Occupancy: 10
; WaveLimiterHint : 1
; COMPUTE_PGM_RSRC2:SCRATCH_EN: 1
; COMPUTE_PGM_RSRC2:USER_SGPR: 15
; COMPUTE_PGM_RSRC2:TRAP_HANDLER: 0
; COMPUTE_PGM_RSRC2:TGID_X_EN: 1
; COMPUTE_PGM_RSRC2:TGID_Y_EN: 0
; COMPUTE_PGM_RSRC2:TGID_Z_EN: 0
; COMPUTE_PGM_RSRC2:TIDIG_COMP_CNT: 0
	.text
	.p2alignl 7, 3214868480
	.fill 96, 4, 3214868480
	.type	__hip_cuid_bf11336c5bdaa53,@object ; @__hip_cuid_bf11336c5bdaa53
	.section	.bss,"aw",@nobits
	.globl	__hip_cuid_bf11336c5bdaa53
__hip_cuid_bf11336c5bdaa53:
	.byte	0                               ; 0x0
	.size	__hip_cuid_bf11336c5bdaa53, 1

	.ident	"AMD clang version 19.0.0git (https://github.com/RadeonOpenCompute/llvm-project roc-6.4.0 25133 c7fe45cf4b819c5991fe208aaa96edf142730f1d)"
	.section	".note.GNU-stack","",@progbits
	.addrsig
	.addrsig_sym __hip_cuid_bf11336c5bdaa53
	.amdgpu_metadata
---
amdhsa.kernels:
  - .args:
      - .offset:         0
        .size:           4
        .value_kind:     by_value
      - .offset:         4
        .size:           4
        .value_kind:     by_value
      - .address_space:  global
        .offset:         8
        .size:           8
        .value_kind:     global_buffer
      - .address_space:  global
        .offset:         16
        .size:           8
        .value_kind:     global_buffer
      - .address_space:  global
        .offset:         24
        .size:           8
        .value_kind:     global_buffer
      - .address_space:  global
        .offset:         32
        .size:           8
        .value_kind:     global_buffer
      - .address_space:  global
        .offset:         40
        .size:           8
        .value_kind:     global_buffer
      - .address_space:  global
        .offset:         48
        .size:           8
        .value_kind:     global_buffer
      - .address_space:  global
        .offset:         56
        .size:           8
        .value_kind:     global_buffer
      - .address_space:  global
        .offset:         64
        .size:           8
        .value_kind:     global_buffer
      - .address_space:  global
        .offset:         72
        .size:           8
        .value_kind:     global_buffer
      - .address_space:  global
        .offset:         80
        .size:           8
        .value_kind:     global_buffer
      - .offset:         88
        .size:           4
        .value_kind:     by_value
      - .offset:         96
        .size:           4
        .value_kind:     hidden_block_count_x
      - .offset:         100
        .size:           4
        .value_kind:     hidden_block_count_y
      - .offset:         104
        .size:           4
        .value_kind:     hidden_block_count_z
      - .offset:         108
        .size:           2
        .value_kind:     hidden_group_size_x
      - .offset:         110
        .size:           2
        .value_kind:     hidden_group_size_y
      - .offset:         112
        .size:           2
        .value_kind:     hidden_group_size_z
      - .offset:         114
        .size:           2
        .value_kind:     hidden_remainder_x
      - .offset:         116
        .size:           2
        .value_kind:     hidden_remainder_y
      - .offset:         118
        .size:           2
        .value_kind:     hidden_remainder_z
      - .offset:         136
        .size:           8
        .value_kind:     hidden_global_offset_x
      - .offset:         144
        .size:           8
        .value_kind:     hidden_global_offset_y
      - .offset:         152
        .size:           8
        .value_kind:     hidden_global_offset_z
      - .offset:         160
        .size:           2
        .value_kind:     hidden_grid_dims
    .group_segment_fixed_size: 0
    .kernarg_segment_align: 8
    .kernarg_segment_size: 352
    .language:       OpenCL C
    .language_version:
      - 2
      - 0
    .max_flat_workgroup_size: 1024
    .name:           _ZL11fasten_mainILm1EEviiPK4AtomS2_PKfS4_S4_S4_S4_S4_PfPK8FFParamsi
    .private_segment_fixed_size: 0
    .sgpr_count:     30
    .sgpr_spill_count: 0
    .symbol:         _ZL11fasten_mainILm1EEviiPK4AtomS2_PKfS4_S4_S4_S4_S4_PfPK8FFParamsi.kd
    .uniform_work_group_size: 1
    .uses_dynamic_stack: false
    .vgpr_count:     43
    .vgpr_spill_count: 0
    .wavefront_size: 32
    .workgroup_processor_mode: 1
  - .args:
      - .offset:         0
        .size:           4
        .value_kind:     by_value
      - .offset:         4
        .size:           4
        .value_kind:     by_value
      - .address_space:  global
        .offset:         8
        .size:           8
        .value_kind:     global_buffer
      - .address_space:  global
        .offset:         16
        .size:           8
        .value_kind:     global_buffer
      - .address_space:  global
        .offset:         24
        .size:           8
        .value_kind:     global_buffer
      - .address_space:  global
        .offset:         32
        .size:           8
        .value_kind:     global_buffer
      - .address_space:  global
        .offset:         40
        .size:           8
        .value_kind:     global_buffer
      - .address_space:  global
        .offset:         48
        .size:           8
        .value_kind:     global_buffer
      - .address_space:  global
        .offset:         56
        .size:           8
        .value_kind:     global_buffer
      - .address_space:  global
        .offset:         64
        .size:           8
        .value_kind:     global_buffer
      - .address_space:  global
        .offset:         72
        .size:           8
        .value_kind:     global_buffer
      - .address_space:  global
        .offset:         80
        .size:           8
        .value_kind:     global_buffer
      - .offset:         88
        .size:           4
        .value_kind:     by_value
      - .offset:         96
        .size:           4
        .value_kind:     hidden_block_count_x
      - .offset:         100
        .size:           4
        .value_kind:     hidden_block_count_y
      - .offset:         104
        .size:           4
        .value_kind:     hidden_block_count_z
      - .offset:         108
        .size:           2
        .value_kind:     hidden_group_size_x
      - .offset:         110
        .size:           2
        .value_kind:     hidden_group_size_y
      - .offset:         112
        .size:           2
        .value_kind:     hidden_group_size_z
      - .offset:         114
        .size:           2
        .value_kind:     hidden_remainder_x
      - .offset:         116
        .size:           2
        .value_kind:     hidden_remainder_y
      - .offset:         118
        .size:           2
        .value_kind:     hidden_remainder_z
      - .offset:         136
        .size:           8
        .value_kind:     hidden_global_offset_x
      - .offset:         144
        .size:           8
        .value_kind:     hidden_global_offset_y
      - .offset:         152
        .size:           8
        .value_kind:     hidden_global_offset_z
      - .offset:         160
        .size:           2
        .value_kind:     hidden_grid_dims
    .group_segment_fixed_size: 0
    .kernarg_segment_align: 8
    .kernarg_segment_size: 352
    .language:       OpenCL C
    .language_version:
      - 2
      - 0
    .max_flat_workgroup_size: 1024
    .name:           _ZL11fasten_mainILm2EEviiPK4AtomS2_PKfS4_S4_S4_S4_S4_PfPK8FFParamsi
    .private_segment_fixed_size: 112
    .sgpr_count:     36
    .sgpr_spill_count: 0
    .symbol:         _ZL11fasten_mainILm2EEviiPK4AtomS2_PKfS4_S4_S4_S4_S4_PfPK8FFParamsi.kd
    .uniform_work_group_size: 1
    .uses_dynamic_stack: false
    .vgpr_count:     63
    .vgpr_spill_count: 0
    .wavefront_size: 32
    .workgroup_processor_mode: 1
  - .args:
      - .offset:         0
        .size:           4
        .value_kind:     by_value
      - .offset:         4
        .size:           4
        .value_kind:     by_value
      - .address_space:  global
        .offset:         8
        .size:           8
        .value_kind:     global_buffer
      - .address_space:  global
        .offset:         16
        .size:           8
        .value_kind:     global_buffer
      - .address_space:  global
        .offset:         24
        .size:           8
        .value_kind:     global_buffer
      - .address_space:  global
        .offset:         32
        .size:           8
        .value_kind:     global_buffer
      - .address_space:  global
        .offset:         40
        .size:           8
        .value_kind:     global_buffer
      - .address_space:  global
        .offset:         48
        .size:           8
        .value_kind:     global_buffer
      - .address_space:  global
        .offset:         56
        .size:           8
        .value_kind:     global_buffer
      - .address_space:  global
        .offset:         64
        .size:           8
        .value_kind:     global_buffer
      - .address_space:  global
        .offset:         72
        .size:           8
        .value_kind:     global_buffer
      - .address_space:  global
        .offset:         80
        .size:           8
        .value_kind:     global_buffer
      - .offset:         88
        .size:           4
        .value_kind:     by_value
      - .offset:         96
        .size:           4
        .value_kind:     hidden_block_count_x
      - .offset:         100
        .size:           4
        .value_kind:     hidden_block_count_y
      - .offset:         104
        .size:           4
        .value_kind:     hidden_block_count_z
      - .offset:         108
        .size:           2
        .value_kind:     hidden_group_size_x
      - .offset:         110
        .size:           2
        .value_kind:     hidden_group_size_y
      - .offset:         112
        .size:           2
        .value_kind:     hidden_group_size_z
      - .offset:         114
        .size:           2
        .value_kind:     hidden_remainder_x
      - .offset:         116
        .size:           2
        .value_kind:     hidden_remainder_y
      - .offset:         118
        .size:           2
        .value_kind:     hidden_remainder_z
      - .offset:         136
        .size:           8
        .value_kind:     hidden_global_offset_x
      - .offset:         144
        .size:           8
        .value_kind:     hidden_global_offset_y
      - .offset:         152
        .size:           8
        .value_kind:     hidden_global_offset_z
      - .offset:         160
        .size:           2
        .value_kind:     hidden_grid_dims
    .group_segment_fixed_size: 0
    .kernarg_segment_align: 8
    .kernarg_segment_size: 352
    .language:       OpenCL C
    .language_version:
      - 2
      - 0
    .max_flat_workgroup_size: 1024
    .name:           _ZL11fasten_mainILm4EEviiPK4AtomS2_PKfS4_S4_S4_S4_S4_PfPK8FFParamsi
    .private_segment_fixed_size: 208
    .sgpr_count:     36
    .sgpr_spill_count: 0
    .symbol:         _ZL11fasten_mainILm4EEviiPK4AtomS2_PKfS4_S4_S4_S4_S4_PfPK8FFParamsi.kd
    .uniform_work_group_size: 1
    .uses_dynamic_stack: false
    .vgpr_count:     107
    .vgpr_spill_count: 0
    .wavefront_size: 32
    .workgroup_processor_mode: 1
  - .args:
      - .offset:         0
        .size:           4
        .value_kind:     by_value
      - .offset:         4
        .size:           4
        .value_kind:     by_value
      - .address_space:  global
        .offset:         8
        .size:           8
        .value_kind:     global_buffer
      - .address_space:  global
        .offset:         16
        .size:           8
        .value_kind:     global_buffer
      - .address_space:  global
        .offset:         24
        .size:           8
        .value_kind:     global_buffer
      - .address_space:  global
        .offset:         32
        .size:           8
        .value_kind:     global_buffer
      - .address_space:  global
        .offset:         40
        .size:           8
        .value_kind:     global_buffer
      - .address_space:  global
        .offset:         48
        .size:           8
        .value_kind:     global_buffer
      - .address_space:  global
        .offset:         56
        .size:           8
        .value_kind:     global_buffer
      - .address_space:  global
        .offset:         64
        .size:           8
        .value_kind:     global_buffer
      - .address_space:  global
        .offset:         72
        .size:           8
        .value_kind:     global_buffer
      - .address_space:  global
        .offset:         80
        .size:           8
        .value_kind:     global_buffer
      - .offset:         88
        .size:           4
        .value_kind:     by_value
      - .offset:         96
        .size:           4
        .value_kind:     hidden_block_count_x
      - .offset:         100
        .size:           4
        .value_kind:     hidden_block_count_y
      - .offset:         104
        .size:           4
        .value_kind:     hidden_block_count_z
      - .offset:         108
        .size:           2
        .value_kind:     hidden_group_size_x
      - .offset:         110
        .size:           2
        .value_kind:     hidden_group_size_y
      - .offset:         112
        .size:           2
        .value_kind:     hidden_group_size_z
      - .offset:         114
        .size:           2
        .value_kind:     hidden_remainder_x
      - .offset:         116
        .size:           2
        .value_kind:     hidden_remainder_y
      - .offset:         118
        .size:           2
        .value_kind:     hidden_remainder_z
      - .offset:         136
        .size:           8
        .value_kind:     hidden_global_offset_x
      - .offset:         144
        .size:           8
        .value_kind:     hidden_global_offset_y
      - .offset:         152
        .size:           8
        .value_kind:     hidden_global_offset_z
      - .offset:         160
        .size:           2
        .value_kind:     hidden_grid_dims
    .group_segment_fixed_size: 0
    .kernarg_segment_align: 8
    .kernarg_segment_size: 352
    .language:       OpenCL C
    .language_version:
      - 2
      - 0
    .max_flat_workgroup_size: 1024
    .name:           _ZL11fasten_mainILm8EEviiPK4AtomS2_PKfS4_S4_S4_S4_S4_PfPK8FFParamsi
    .private_segment_fixed_size: 400
    .sgpr_count:     34
    .sgpr_spill_count: 0
    .symbol:         _ZL11fasten_mainILm8EEviiPK4AtomS2_PKfS4_S4_S4_S4_S4_PfPK8FFParamsi.kd
    .uniform_work_group_size: 1
    .uses_dynamic_stack: false
    .vgpr_count:     151
    .vgpr_spill_count: 0
    .wavefront_size: 32
    .workgroup_processor_mode: 1
  - .args:
      - .offset:         0
        .size:           4
        .value_kind:     by_value
      - .offset:         4
        .size:           4
        .value_kind:     by_value
      - .address_space:  global
        .offset:         8
        .size:           8
        .value_kind:     global_buffer
      - .address_space:  global
        .offset:         16
        .size:           8
        .value_kind:     global_buffer
      - .address_space:  global
        .offset:         24
        .size:           8
        .value_kind:     global_buffer
      - .address_space:  global
        .offset:         32
        .size:           8
        .value_kind:     global_buffer
      - .address_space:  global
        .offset:         40
        .size:           8
        .value_kind:     global_buffer
      - .address_space:  global
        .offset:         48
        .size:           8
        .value_kind:     global_buffer
      - .address_space:  global
        .offset:         56
        .size:           8
        .value_kind:     global_buffer
      - .address_space:  global
        .offset:         64
        .size:           8
        .value_kind:     global_buffer
      - .address_space:  global
        .offset:         72
        .size:           8
        .value_kind:     global_buffer
      - .address_space:  global
        .offset:         80
        .size:           8
        .value_kind:     global_buffer
      - .offset:         88
        .size:           4
        .value_kind:     by_value
      - .offset:         96
        .size:           4
        .value_kind:     hidden_block_count_x
      - .offset:         100
        .size:           4
        .value_kind:     hidden_block_count_y
      - .offset:         104
        .size:           4
        .value_kind:     hidden_block_count_z
      - .offset:         108
        .size:           2
        .value_kind:     hidden_group_size_x
      - .offset:         110
        .size:           2
        .value_kind:     hidden_group_size_y
      - .offset:         112
        .size:           2
        .value_kind:     hidden_group_size_z
      - .offset:         114
        .size:           2
        .value_kind:     hidden_remainder_x
      - .offset:         116
        .size:           2
        .value_kind:     hidden_remainder_y
      - .offset:         118
        .size:           2
        .value_kind:     hidden_remainder_z
      - .offset:         136
        .size:           8
        .value_kind:     hidden_global_offset_x
      - .offset:         144
        .size:           8
        .value_kind:     hidden_global_offset_y
      - .offset:         152
        .size:           8
        .value_kind:     hidden_global_offset_z
      - .offset:         160
        .size:           2
        .value_kind:     hidden_grid_dims
    .group_segment_fixed_size: 0
    .kernarg_segment_align: 8
    .kernarg_segment_size: 352
    .language:       OpenCL C
    .language_version:
      - 2
      - 0
    .max_flat_workgroup_size: 1024
    .name:           _ZL11fasten_mainILm16EEviiPK4AtomS2_PKfS4_S4_S4_S4_S4_PfPK8FFParamsi
    .private_segment_fixed_size: 1552
    .sgpr_count:     34
    .sgpr_spill_count: 0
    .symbol:         _ZL11fasten_mainILm16EEviiPK4AtomS2_PKfS4_S4_S4_S4_S4_PfPK8FFParamsi.kd
    .uniform_work_group_size: 1
    .uses_dynamic_stack: false
    .vgpr_count:     192
    .vgpr_spill_count: 194
    .wavefront_size: 32
    .workgroup_processor_mode: 1
  - .args:
      - .offset:         0
        .size:           4
        .value_kind:     by_value
      - .offset:         4
        .size:           4
        .value_kind:     by_value
      - .address_space:  global
        .offset:         8
        .size:           8
        .value_kind:     global_buffer
      - .address_space:  global
        .offset:         16
        .size:           8
        .value_kind:     global_buffer
      - .address_space:  global
        .offset:         24
        .size:           8
        .value_kind:     global_buffer
      - .address_space:  global
        .offset:         32
        .size:           8
        .value_kind:     global_buffer
      - .address_space:  global
        .offset:         40
        .size:           8
        .value_kind:     global_buffer
      - .address_space:  global
        .offset:         48
        .size:           8
        .value_kind:     global_buffer
      - .address_space:  global
        .offset:         56
        .size:           8
        .value_kind:     global_buffer
      - .address_space:  global
        .offset:         64
        .size:           8
        .value_kind:     global_buffer
      - .address_space:  global
        .offset:         72
        .size:           8
        .value_kind:     global_buffer
      - .address_space:  global
        .offset:         80
        .size:           8
        .value_kind:     global_buffer
      - .offset:         88
        .size:           4
        .value_kind:     by_value
      - .offset:         96
        .size:           4
        .value_kind:     hidden_block_count_x
      - .offset:         100
        .size:           4
        .value_kind:     hidden_block_count_y
      - .offset:         104
        .size:           4
        .value_kind:     hidden_block_count_z
      - .offset:         108
        .size:           2
        .value_kind:     hidden_group_size_x
      - .offset:         110
        .size:           2
        .value_kind:     hidden_group_size_y
      - .offset:         112
        .size:           2
        .value_kind:     hidden_group_size_z
      - .offset:         114
        .size:           2
        .value_kind:     hidden_remainder_x
      - .offset:         116
        .size:           2
        .value_kind:     hidden_remainder_y
      - .offset:         118
        .size:           2
        .value_kind:     hidden_remainder_z
      - .offset:         136
        .size:           8
        .value_kind:     hidden_global_offset_x
      - .offset:         144
        .size:           8
        .value_kind:     hidden_global_offset_y
      - .offset:         152
        .size:           8
        .value_kind:     hidden_global_offset_z
      - .offset:         160
        .size:           2
        .value_kind:     hidden_grid_dims
    .group_segment_fixed_size: 0
    .kernarg_segment_align: 8
    .kernarg_segment_size: 352
    .language:       OpenCL C
    .language_version:
      - 2
      - 0
    .max_flat_workgroup_size: 1024
    .name:           _ZL11fasten_mainILm32EEviiPK4AtomS2_PKfS4_S4_S4_S4_S4_PfPK8FFParamsi
    .private_segment_fixed_size: 2928
    .sgpr_count:     32
    .sgpr_spill_count: 0
    .symbol:         _ZL11fasten_mainILm32EEviiPK4AtomS2_PKfS4_S4_S4_S4_S4_PfPK8FFParamsi.kd
    .uniform_work_group_size: 1
    .uses_dynamic_stack: false
    .vgpr_count:     192
    .vgpr_spill_count: 315
    .wavefront_size: 32
    .workgroup_processor_mode: 1
  - .args:
      - .offset:         0
        .size:           4
        .value_kind:     by_value
      - .offset:         4
        .size:           4
        .value_kind:     by_value
      - .address_space:  global
        .offset:         8
        .size:           8
        .value_kind:     global_buffer
      - .address_space:  global
        .offset:         16
        .size:           8
        .value_kind:     global_buffer
      - .address_space:  global
        .offset:         24
        .size:           8
        .value_kind:     global_buffer
      - .address_space:  global
        .offset:         32
        .size:           8
        .value_kind:     global_buffer
      - .address_space:  global
        .offset:         40
        .size:           8
        .value_kind:     global_buffer
      - .address_space:  global
        .offset:         48
        .size:           8
        .value_kind:     global_buffer
      - .address_space:  global
        .offset:         56
        .size:           8
        .value_kind:     global_buffer
      - .address_space:  global
        .offset:         64
        .size:           8
        .value_kind:     global_buffer
      - .address_space:  global
        .offset:         72
        .size:           8
        .value_kind:     global_buffer
      - .address_space:  global
        .offset:         80
        .size:           8
        .value_kind:     global_buffer
      - .offset:         88
        .size:           4
        .value_kind:     by_value
      - .offset:         96
        .size:           4
        .value_kind:     hidden_block_count_x
      - .offset:         100
        .size:           4
        .value_kind:     hidden_block_count_y
      - .offset:         104
        .size:           4
        .value_kind:     hidden_block_count_z
      - .offset:         108
        .size:           2
        .value_kind:     hidden_group_size_x
      - .offset:         110
        .size:           2
        .value_kind:     hidden_group_size_y
      - .offset:         112
        .size:           2
        .value_kind:     hidden_group_size_z
      - .offset:         114
        .size:           2
        .value_kind:     hidden_remainder_x
      - .offset:         116
        .size:           2
        .value_kind:     hidden_remainder_y
      - .offset:         118
        .size:           2
        .value_kind:     hidden_remainder_z
      - .offset:         136
        .size:           8
        .value_kind:     hidden_global_offset_x
      - .offset:         144
        .size:           8
        .value_kind:     hidden_global_offset_y
      - .offset:         152
        .size:           8
        .value_kind:     hidden_global_offset_z
      - .offset:         160
        .size:           2
        .value_kind:     hidden_grid_dims
    .group_segment_fixed_size: 0
    .kernarg_segment_align: 8
    .kernarg_segment_size: 352
    .language:       OpenCL C
    .language_version:
      - 2
      - 0
    .max_flat_workgroup_size: 1024
    .name:           _ZL11fasten_mainILm64EEviiPK4AtomS2_PKfS4_S4_S4_S4_S4_PfPK8FFParamsi
    .private_segment_fixed_size: 4896
    .sgpr_count:     32
    .sgpr_spill_count: 0
    .symbol:         _ZL11fasten_mainILm64EEviiPK4AtomS2_PKfS4_S4_S4_S4_S4_PfPK8FFParamsi.kd
    .uniform_work_group_size: 1
    .uses_dynamic_stack: false
    .vgpr_count:     192
    .vgpr_spill_count: 387
    .wavefront_size: 32
    .workgroup_processor_mode: 1
  - .args:
      - .offset:         0
        .size:           4
        .value_kind:     by_value
      - .offset:         4
        .size:           4
        .value_kind:     by_value
      - .address_space:  global
        .offset:         8
        .size:           8
        .value_kind:     global_buffer
      - .address_space:  global
        .offset:         16
        .size:           8
        .value_kind:     global_buffer
      - .address_space:  global
        .offset:         24
        .size:           8
        .value_kind:     global_buffer
      - .address_space:  global
        .offset:         32
        .size:           8
        .value_kind:     global_buffer
      - .address_space:  global
        .offset:         40
        .size:           8
        .value_kind:     global_buffer
      - .address_space:  global
        .offset:         48
        .size:           8
        .value_kind:     global_buffer
      - .address_space:  global
        .offset:         56
        .size:           8
        .value_kind:     global_buffer
      - .address_space:  global
        .offset:         64
        .size:           8
        .value_kind:     global_buffer
      - .address_space:  global
        .offset:         72
        .size:           8
        .value_kind:     global_buffer
      - .address_space:  global
        .offset:         80
        .size:           8
        .value_kind:     global_buffer
      - .offset:         88
        .size:           4
        .value_kind:     by_value
      - .offset:         96
        .size:           4
        .value_kind:     hidden_block_count_x
      - .offset:         100
        .size:           4
        .value_kind:     hidden_block_count_y
      - .offset:         104
        .size:           4
        .value_kind:     hidden_block_count_z
      - .offset:         108
        .size:           2
        .value_kind:     hidden_group_size_x
      - .offset:         110
        .size:           2
        .value_kind:     hidden_group_size_y
      - .offset:         112
        .size:           2
        .value_kind:     hidden_group_size_z
      - .offset:         114
        .size:           2
        .value_kind:     hidden_remainder_x
      - .offset:         116
        .size:           2
        .value_kind:     hidden_remainder_y
      - .offset:         118
        .size:           2
        .value_kind:     hidden_remainder_z
      - .offset:         136
        .size:           8
        .value_kind:     hidden_global_offset_x
      - .offset:         144
        .size:           8
        .value_kind:     hidden_global_offset_y
      - .offset:         152
        .size:           8
        .value_kind:     hidden_global_offset_z
      - .offset:         160
        .size:           2
        .value_kind:     hidden_grid_dims
    .group_segment_fixed_size: 0
    .kernarg_segment_align: 8
    .kernarg_segment_size: 352
    .language:       OpenCL C
    .language_version:
      - 2
      - 0
    .max_flat_workgroup_size: 1024
    .name:           _ZL11fasten_mainILm128EEviiPK4AtomS2_PKfS4_S4_S4_S4_S4_PfPK8FFParamsi
    .private_segment_fixed_size: 8208
    .sgpr_count:     32
    .sgpr_spill_count: 0
    .symbol:         _ZL11fasten_mainILm128EEviiPK4AtomS2_PKfS4_S4_S4_S4_S4_PfPK8FFParamsi.kd
    .uniform_work_group_size: 1
    .uses_dynamic_stack: false
    .vgpr_count:     124
    .vgpr_spill_count: 0
    .wavefront_size: 32
    .workgroup_processor_mode: 1
amdhsa.target:   amdgcn-amd-amdhsa--gfx1100
amdhsa.version:
  - 1
  - 2
...

	.end_amdgpu_metadata
